;; amdgpu-corpus repo=ROCm/rocFFT kind=compiled arch=gfx1030 opt=O3
	.text
	.amdgcn_target "amdgcn-amd-amdhsa--gfx1030"
	.amdhsa_code_object_version 6
	.protected	bluestein_single_back_len748_dim1_half_op_CI_CI ; -- Begin function bluestein_single_back_len748_dim1_half_op_CI_CI
	.globl	bluestein_single_back_len748_dim1_half_op_CI_CI
	.p2align	8
	.type	bluestein_single_back_len748_dim1_half_op_CI_CI,@function
bluestein_single_back_len748_dim1_half_op_CI_CI: ; @bluestein_single_back_len748_dim1_half_op_CI_CI
; %bb.0:
	s_load_dwordx4 s[0:3], s[4:5], 0x28
	v_mul_u32_u24_e32 v1, 0x3c4, v0
	v_lshrrev_b32_e32 v1, 16, v1
	v_mad_u64_u32 v[17:18], null, s6, 3, v[1:2]
	v_mov_b32_e32 v18, 0
                                        ; kill: def $vgpr2 killed $sgpr0 killed $exec
	s_waitcnt lgkmcnt(0)
	v_cmp_gt_u64_e32 vcc_lo, s[0:1], v[17:18]
	s_and_saveexec_b32 s0, vcc_lo
	s_cbranch_execz .LBB0_23
; %bb.1:
	v_mul_hi_u32 v2, 0xaaaaaaab, v17
	v_mul_lo_u16 v1, 0x44, v1
	s_clause 0x1
	s_load_dwordx2 s[12:13], s[4:5], 0x0
	s_load_dwordx2 s[14:15], s[4:5], 0x38
	v_sub_nc_u16 v0, v0, v1
	v_lshrrev_b32_e32 v2, 1, v2
	v_and_b32_e32 v40, 0xffff, v0
	v_cmp_gt_u16_e32 vcc_lo, 44, v0
	v_lshl_add_u32 v2, v2, 1, v2
	v_lshlrev_b32_e32 v39, 2, v40
	v_or_b32_e32 v38, 0x2c0, v40
	v_sub_nc_u32_e32 v1, v17, v2
	v_mul_u32_u24_e32 v28, 0x2ec, v1
	v_lshlrev_b32_e32 v41, 2, v28
	s_and_saveexec_b32 s1, vcc_lo
	s_cbranch_execz .LBB0_3
; %bb.2:
	s_load_dwordx2 s[6:7], s[4:5], 0x18
	s_waitcnt lgkmcnt(0)
	s_load_dwordx4 s[8:11], s[6:7], 0x0
	s_clause 0x5
	global_load_dword v10, v39, s[12:13] offset:176
	global_load_dword v11, v39, s[12:13] offset:352
	;; [unrolled: 1-line block ×6, first 2 shown]
	s_waitcnt lgkmcnt(0)
	v_mad_u64_u32 v[0:1], null, s10, v17, 0
	v_mad_u64_u32 v[2:3], null, s8, v40, 0
	;; [unrolled: 1-line block ×3, first 2 shown]
	s_mul_i32 s0, s9, 0xb0
	s_mul_hi_u32 s6, s8, 0xb0
	s_mul_i32 s7, s8, 0xb0
	s_add_i32 s6, s6, s0
	v_mad_u64_u32 v[6:7], null, s11, v17, v[1:2]
	v_mov_b32_e32 v1, v5
	v_mad_u64_u32 v[7:8], null, s9, v40, v[3:4]
	v_lshlrev_b32_e32 v5, 2, v38
	v_mad_u64_u32 v[8:9], null, s9, v38, v[1:2]
	v_mov_b32_e32 v1, v6
	s_clause 0x1
	global_load_dword v6, v39, s[12:13]
	global_load_dword v9, v5, s[12:13]
	v_mov_b32_e32 v3, v7
	v_lshlrev_b64 v[0:1], 2, v[0:1]
	v_mov_b32_e32 v5, v8
	v_lshlrev_b64 v[2:3], 2, v[2:3]
	v_add_co_u32 v7, s0, s2, v0
	v_add_co_ci_u32_e64 v8, s0, s3, v1, s0
	v_lshlrev_b64 v[0:1], 2, v[4:5]
	v_add_co_u32 v2, s0, v7, v2
	v_add_co_ci_u32_e64 v3, s0, v8, v3, s0
	v_add_co_u32 v0, s0, v7, v0
	v_add_co_ci_u32_e64 v1, s0, v8, v1, s0
	s_clause 0x1
	global_load_dword v7, v[2:3], off
	global_load_dword v8, v[0:1], off
	v_add_co_u32 v2, s0, v2, s7
	v_add_co_ci_u32_e64 v3, s0, s6, v3, s0
	v_add_co_u32 v0, s0, v2, s7
	v_add_co_ci_u32_e64 v1, s0, s6, v3, s0
	global_load_dword v16, v[2:3], off
	v_add_co_u32 v2, s0, v0, s7
	v_add_co_ci_u32_e64 v3, s0, s6, v1, s0
	s_clause 0x1
	global_load_dword v18, v[0:1], off
	global_load_dword v19, v[2:3], off
	v_add_co_u32 v0, s0, v2, s7
	v_add_co_ci_u32_e64 v1, s0, s6, v3, s0
	v_add_co_u32 v4, s0, s12, v39
	v_add_co_ci_u32_e64 v5, null, s13, 0, s0
	v_add_co_u32 v2, s0, v0, s7
	v_add_co_ci_u32_e64 v3, s0, s6, v1, s0
	global_load_dword v20, v[0:1], off
	v_add_co_u32 v0, s0, v2, s7
	v_add_co_ci_u32_e64 v1, s0, s6, v3, s0
	global_load_dword v21, v[2:3], off
	;; [unrolled: 3-line block ×4, first 2 shown]
	v_add_co_u32 v2, s0, v0, s7
	v_add_co_ci_u32_e64 v3, s0, s6, v1, s0
	s_clause 0x4
	global_load_dword v24, v39, s[12:13] offset:1232
	global_load_dword v25, v39, s[12:13] offset:1408
	;; [unrolled: 1-line block ×5, first 2 shown]
	global_load_dword v30, v[0:1], off
	global_load_dword v31, v[2:3], off
	v_add_co_u32 v0, s0, v2, s7
	v_add_co_ci_u32_e64 v1, s0, s6, v3, s0
	v_add_co_u32 v2, s0, 0x800, v4
	v_add_co_ci_u32_e64 v3, s0, 0, v5, s0
	global_load_dword v32, v[0:1], off
	v_add_co_u32 v0, s0, v0, s7
	v_add_co_ci_u32_e64 v1, s0, s6, v1, s0
	global_load_dword v33, v[2:3], off offset:64
	v_add_co_u32 v4, s0, v0, s7
	v_add_co_ci_u32_e64 v5, s0, s6, v1, s0
	global_load_dword v34, v[0:1], off
	v_add_co_u32 v0, s0, v4, s7
	v_add_co_ci_u32_e64 v1, s0, s6, v5, s0
	global_load_dword v35, v[4:5], off
	;; [unrolled: 3-line block ×3, first 2 shown]
	v_add_co_u32 v0, s0, v4, s7
	v_add_co_ci_u32_e64 v1, s0, s6, v5, s0
	global_load_dword v37, v[2:3], off offset:240
	global_load_dword v4, v[4:5], off
	global_load_dword v0, v[0:1], off
	s_clause 0x1
	global_load_dword v1, v[2:3], off offset:416
	global_load_dword v2, v[2:3], off offset:592
	v_lshl_add_u32 v5, v40, 2, v41
	v_add_nc_u32_e32 v3, v41, v39
	v_add_nc_u32_e32 v42, 0x200, v3
	;; [unrolled: 1-line block ×5, first 2 shown]
	s_waitcnt vmcnt(25)
	v_lshrrev_b32_e32 v45, 16, v7
	v_mul_f16_sdwa v46, v6, v7 dst_sel:DWORD dst_unused:UNUSED_PAD src0_sel:WORD_1 src1_sel:DWORD
	s_waitcnt vmcnt(24)
	v_lshrrev_b32_e32 v48, 16, v8
	v_mul_f16_sdwa v49, v9, v8 dst_sel:DWORD dst_unused:UNUSED_PAD src0_sel:WORD_1 src1_sel:DWORD
	v_mul_f16_sdwa v50, v6, v45 dst_sel:DWORD dst_unused:UNUSED_PAD src0_sel:WORD_1 src1_sel:DWORD
	v_fma_f16 v45, v6, v45, -v46
	v_mul_f16_sdwa v52, v9, v48 dst_sel:DWORD dst_unused:UNUSED_PAD src0_sel:WORD_1 src1_sel:DWORD
	v_fma_f16 v48, v9, v48, -v49
	v_fmac_f16_e32 v50, v6, v7
	s_waitcnt vmcnt(23)
	v_lshrrev_b32_e32 v46, 16, v16
	v_mul_f16_sdwa v51, v10, v16 dst_sel:DWORD dst_unused:UNUSED_PAD src0_sel:WORD_1 src1_sel:DWORD
	v_fmac_f16_e32 v52, v9, v8
	v_pack_b32_f16 v8, v50, v45
	v_mul_f16_sdwa v6, v10, v46 dst_sel:DWORD dst_unused:UNUSED_PAD src0_sel:WORD_1 src1_sel:DWORD
	v_fma_f16 v7, v10, v46, -v51
	s_waitcnt vmcnt(22)
	v_lshrrev_b32_e32 v46, 16, v18
	v_mul_f16_sdwa v49, v11, v18 dst_sel:DWORD dst_unused:UNUSED_PAD src0_sel:WORD_1 src1_sel:DWORD
	s_waitcnt vmcnt(21)
	v_mul_f16_sdwa v45, v12, v19 dst_sel:DWORD dst_unused:UNUSED_PAD src0_sel:WORD_1 src1_sel:DWORD
	v_fmac_f16_e32 v6, v10, v16
	v_lshrrev_b32_e32 v16, 16, v19
	v_mul_f16_sdwa v9, v11, v46 dst_sel:DWORD dst_unused:UNUSED_PAD src0_sel:WORD_1 src1_sel:DWORD
	v_fma_f16 v10, v11, v46, -v49
	ds_write_b32 v5, v8
	v_pack_b32_f16 v5, v6, v7
	v_mul_f16_sdwa v6, v12, v16 dst_sel:DWORD dst_unused:UNUSED_PAD src0_sel:WORD_1 src1_sel:DWORD
	v_fmac_f16_e32 v9, v11, v18
	v_fma_f16 v11, v12, v16, -v45
	s_waitcnt vmcnt(20)
	v_lshrrev_b32_e32 v7, 16, v20
	v_mul_f16_sdwa v8, v13, v20 dst_sel:DWORD dst_unused:UNUSED_PAD src0_sel:WORD_1 src1_sel:DWORD
	v_pack_b32_f16 v9, v9, v10
	v_fmac_f16_e32 v6, v12, v19
	v_mul_f16_sdwa v10, v13, v7 dst_sel:DWORD dst_unused:UNUSED_PAD src0_sel:WORD_1 src1_sel:DWORD
	v_fma_f16 v7, v13, v7, -v8
	s_waitcnt vmcnt(19)
	v_lshrrev_b32_e32 v8, 16, v21
	v_mul_f16_sdwa v12, v14, v21 dst_sel:DWORD dst_unused:UNUSED_PAD src0_sel:WORD_1 src1_sel:DWORD
	ds_write2_b32 v3, v5, v9 offset0:44 offset1:88
	v_pack_b32_f16 v5, v6, v11
	v_fmac_f16_e32 v10, v13, v20
	v_mul_f16_sdwa v6, v14, v8 dst_sel:DWORD dst_unused:UNUSED_PAD src0_sel:WORD_1 src1_sel:DWORD
	s_waitcnt vmcnt(18)
	v_lshrrev_b32_e32 v9, 16, v22
	v_mul_f16_sdwa v11, v15, v22 dst_sel:DWORD dst_unused:UNUSED_PAD src0_sel:WORD_1 src1_sel:DWORD
	v_fma_f16 v8, v14, v8, -v12
	v_pack_b32_f16 v7, v10, v7
	v_fmac_f16_e32 v6, v14, v21
	v_mul_f16_sdwa v10, v15, v9 dst_sel:DWORD dst_unused:UNUSED_PAD src0_sel:WORD_1 src1_sel:DWORD
	v_fma_f16 v9, v15, v9, -v11
	s_waitcnt vmcnt(17)
	v_lshrrev_b32_e32 v11, 16, v23
	s_waitcnt vmcnt(16)
	v_mul_f16_sdwa v12, v24, v23 dst_sel:DWORD dst_unused:UNUSED_PAD src0_sel:WORD_1 src1_sel:DWORD
	ds_write2_b32 v3, v5, v7 offset0:132 offset1:176
	v_pack_b32_f16 v3, v6, v8
	v_fmac_f16_e32 v10, v15, v22
	v_mul_f16_sdwa v5, v24, v11 dst_sel:DWORD dst_unused:UNUSED_PAD src0_sel:WORD_1 src1_sel:DWORD
	s_waitcnt vmcnt(11)
	v_lshrrev_b32_e32 v6, 16, v30
	v_mul_f16_sdwa v7, v25, v30 dst_sel:DWORD dst_unused:UNUSED_PAD src0_sel:WORD_1 src1_sel:DWORD
	v_fma_f16 v8, v24, v11, -v12
	v_pack_b32_f16 v9, v10, v9
	v_fmac_f16_e32 v5, v24, v23
	v_mul_f16_sdwa v10, v25, v6 dst_sel:DWORD dst_unused:UNUSED_PAD src0_sel:WORD_1 src1_sel:DWORD
	v_fma_f16 v6, v25, v6, -v7
	s_waitcnt vmcnt(10)
	v_lshrrev_b32_e32 v7, 16, v31
	v_mul_f16_sdwa v11, v26, v31 dst_sel:DWORD dst_unused:UNUSED_PAD src0_sel:WORD_1 src1_sel:DWORD
	ds_write2_b32 v42, v3, v9 offset0:92 offset1:136
	v_pack_b32_f16 v3, v5, v8
	v_fmac_f16_e32 v10, v25, v30
	v_mul_f16_sdwa v5, v26, v7 dst_sel:DWORD dst_unused:UNUSED_PAD src0_sel:WORD_1 src1_sel:DWORD
	s_waitcnt vmcnt(9)
	v_lshrrev_b32_e32 v8, 16, v32
	v_mul_f16_sdwa v9, v27, v32 dst_sel:DWORD dst_unused:UNUSED_PAD src0_sel:WORD_1 src1_sel:DWORD
	v_fma_f16 v7, v26, v7, -v11
	v_pack_b32_f16 v6, v10, v6
	v_fmac_f16_e32 v5, v26, v31
	v_mul_f16_sdwa v10, v27, v8 dst_sel:DWORD dst_unused:UNUSED_PAD src0_sel:WORD_1 src1_sel:DWORD
	v_fma_f16 v8, v27, v8, -v9
	s_waitcnt vmcnt(7)
	v_lshrrev_b32_e32 v9, 16, v34
	v_mul_f16_sdwa v11, v29, v34 dst_sel:DWORD dst_unused:UNUSED_PAD src0_sel:WORD_1 src1_sel:DWORD
	ds_write2_b32 v43, v3, v6 offset0:52 offset1:96
	v_pack_b32_f16 v3, v5, v7
	v_fmac_f16_e32 v10, v27, v32
	s_waitcnt vmcnt(6)
	v_lshrrev_b32_e32 v5, 16, v35
	v_mul_f16_sdwa v6, v29, v9 dst_sel:DWORD dst_unused:UNUSED_PAD src0_sel:WORD_1 src1_sel:DWORD
	v_fma_f16 v7, v29, v9, -v11
	v_mul_f16_sdwa v9, v33, v35 dst_sel:DWORD dst_unused:UNUSED_PAD src0_sel:WORD_1 src1_sel:DWORD
	v_pack_b32_f16 v8, v10, v8
	v_mul_f16_sdwa v10, v33, v5 dst_sel:DWORD dst_unused:UNUSED_PAD src0_sel:WORD_1 src1_sel:DWORD
	s_waitcnt vmcnt(5)
	v_lshrrev_b32_e32 v11, 16, v36
	s_waitcnt vmcnt(3)
	v_lshrrev_b32_e32 v12, 16, v4
	v_fma_f16 v5, v33, v5, -v9
	v_mul_f16_sdwa v9, v37, v36 dst_sel:DWORD dst_unused:UNUSED_PAD src0_sel:WORD_1 src1_sel:DWORD
	s_waitcnt vmcnt(2)
	v_lshrrev_b32_e32 v14, 16, v0
	v_mul_f16_sdwa v13, v37, v11 dst_sel:DWORD dst_unused:UNUSED_PAD src0_sel:WORD_1 src1_sel:DWORD
	s_waitcnt vmcnt(1)
	v_mul_f16_sdwa v15, v1, v12 dst_sel:DWORD dst_unused:UNUSED_PAD src0_sel:WORD_1 src1_sel:DWORD
	s_waitcnt vmcnt(0)
	v_mul_f16_sdwa v16, v2, v0 dst_sel:DWORD dst_unused:UNUSED_PAD src0_sel:WORD_1 src1_sel:DWORD
	v_fma_f16 v9, v37, v11, -v9
	v_mul_f16_sdwa v11, v1, v4 dst_sel:DWORD dst_unused:UNUSED_PAD src0_sel:WORD_1 src1_sel:DWORD
	v_mul_f16_sdwa v18, v2, v14 dst_sel:DWORD dst_unused:UNUSED_PAD src0_sel:WORD_1 src1_sel:DWORD
	v_fmac_f16_e32 v6, v29, v34
	v_fmac_f16_e32 v10, v33, v35
	;; [unrolled: 1-line block ×3, first 2 shown]
	v_fma_f16 v11, v1, v12, -v11
	v_fmac_f16_e32 v15, v1, v4
	v_fma_f16 v1, v2, v14, -v16
	v_fmac_f16_e32 v18, v2, v0
	v_pack_b32_f16 v0, v6, v7
	v_pack_b32_f16 v2, v10, v5
	;; [unrolled: 1-line block ×6, first 2 shown]
	ds_write2_b32 v43, v3, v8 offset0:140 offset1:184
	ds_write2_b32 v44, v0, v2 offset0:100 offset1:144
	;; [unrolled: 1-line block ×4, first 2 shown]
.LBB0_3:
	s_or_b32 exec_lo, exec_lo, s1
	v_mov_b32_e32 v4, 0
	s_waitcnt lgkmcnt(0)
	s_barrier
	buffer_gl0_inv
                                        ; implicit-def: $vgpr9
                                        ; implicit-def: $vgpr6
                                        ; implicit-def: $vgpr11
                                        ; implicit-def: $vgpr2
                                        ; implicit-def: $vgpr13
                                        ; implicit-def: $vgpr0
                                        ; implicit-def: $vgpr15
                                        ; implicit-def: $vgpr16
	s_and_saveexec_b32 s0, vcc_lo
	s_cbranch_execz .LBB0_5
; %bb.4:
	v_lshl_add_u32 v16, v28, 2, v39
	ds_read2_b32 v[4:5], v16 offset1:44
	ds_read2_b32 v[14:15], v16 offset0:88 offset1:132
	v_add_nc_u32_e32 v0, 0x400, v16
	v_add_nc_u32_e32 v1, 0x800, v16
	ds_read2_b32 v[12:13], v16 offset0:176 offset1:220
	ds_read2_b32 v[10:11], v0 offset0:8 offset1:52
	;; [unrolled: 1-line block ×6, first 2 shown]
	ds_read_b32 v16, v16 offset:2816
.LBB0_5:
	s_or_b32 exec_lo, exec_lo, s0
	s_waitcnt lgkmcnt(0)
	v_pk_add_f16 v45, v5, v16 neg_lo:[0,1] neg_hi:[0,1]
	v_mov_b32_e32 v27, 0xb5c8
	v_mov_b32_e32 v20, 0xb964
	v_pk_add_f16 v57, v16, v5
	v_pk_add_f16 v67, v14, v1 neg_lo:[0,1] neg_hi:[0,1]
	v_mov_b32_e32 v43, 0xbb29
	v_mul_f16_sdwa v22, v45, v27 dst_sel:DWORD dst_unused:UNUSED_PAD src0_sel:WORD_1 src1_sel:DWORD
	v_mul_f16_sdwa v31, v45, v20 dst_sel:DWORD dst_unused:UNUSED_PAD src0_sel:WORD_1 src1_sel:DWORD
	v_mov_b32_e32 v21, 0xbbf7
	v_pk_add_f16 v56, v1, v14
	v_mul_f16_sdwa v26, v67, v20 dst_sel:DWORD dst_unused:UNUSED_PAD src0_sel:WORD_1 src1_sel:DWORD
	v_fmamk_f16 v18, v57, 0x3b76, v22
	v_pk_add_f16 v49, v15, v0 neg_lo:[0,1] neg_hi:[0,1]
	v_fmamk_f16 v19, v57, 0x39e9, v31
	v_mul_f16_sdwa v29, v67, v21 dst_sel:DWORD dst_unused:UNUSED_PAD src0_sel:WORD_1 src1_sel:DWORD
	v_mov_b32_e32 v23, 0xba62
	v_fmamk_f16 v25, v56, 0x39e9, v26
	v_pk_add_f16 v54, v0, v15
	v_mul_f16_sdwa v30, v49, v43 dst_sel:DWORD dst_unused:UNUSED_PAD src0_sel:WORD_1 src1_sel:DWORD
	v_pk_add_f16 v48, v12, v3 neg_lo:[0,1] neg_hi:[0,1]
	v_add_f16_e32 v18, v18, v4
	v_mov_b32_e32 v78, 0xbbb2
	v_fmamk_f16 v36, v56, 0x2de8, v29
	v_mov_b32_e32 v44, 0xb1e1
	v_mul_f16_sdwa v32, v49, v23 dst_sel:DWORD dst_unused:UNUSED_PAD src0_sel:WORD_1 src1_sel:DWORD
	v_fmamk_f16 v42, v54, 0x3722, v30
	v_pk_add_f16 v53, v3, v12
	v_pk_add_f16 v47, v13, v2 neg_lo:[0,1] neg_hi:[0,1]
	v_mul_f16_sdwa v34, v48, v21 dst_sel:DWORD dst_unused:UNUSED_PAD src0_sel:WORD_1 src1_sel:DWORD
	v_add_f16_e32 v19, v19, v4
	v_add_f16_e32 v18, v25, v18
	v_mov_b32_e32 v81, 0x3836
	v_fmamk_f16 v46, v54, 0xb8d2, v32
	v_mul_f16_sdwa v35, v48, v44 dst_sel:DWORD dst_unused:UNUSED_PAD src0_sel:WORD_1 src1_sel:DWORD
	v_pk_add_f16 v55, v2, v13
	v_mul_f16_sdwa v33, v47, v78 dst_sel:DWORD dst_unused:UNUSED_PAD src0_sel:WORD_1 src1_sel:DWORD
	v_fmamk_f16 v50, v53, 0x2de8, v34
	v_pk_add_f16 v97, v10, v7 neg_lo:[0,1] neg_hi:[0,1]
	v_add_f16_e32 v19, v36, v19
	v_add_f16_e32 v18, v42, v18
	v_mov_b32_e32 v24, 0xb836
	v_mov_b32_e32 v58, 0x3bb2
	v_fmamk_f16 v51, v53, 0xbbdd, v35
	v_fmamk_f16 v52, v55, 0xb461, v33
	v_mul_f16_sdwa v37, v47, v81 dst_sel:DWORD dst_unused:UNUSED_PAD src0_sel:WORD_1 src1_sel:DWORD
	v_pk_add_f16 v64, v7, v10
	v_mul_f16_sdwa v36, v97, v23 dst_sel:DWORD dst_unused:UNUSED_PAD src0_sel:WORD_1 src1_sel:DWORD
	v_add_f16_e32 v19, v46, v19
	v_add_f16_e32 v18, v50, v18
	v_pk_add_f16 v80, v11, v6 neg_lo:[0,1] neg_hi:[0,1]
	v_fmamk_f16 v25, v55, 0xbacd, v37
	v_mul_f16_sdwa v42, v97, v58 dst_sel:DWORD dst_unused:UNUSED_PAD src0_sel:WORD_1 src1_sel:DWORD
	v_fmamk_f16 v59, v64, 0xb8d2, v36
	v_add_f16_e32 v19, v51, v19
	v_pk_add_f16 v68, v6, v11
	v_add_f16_e32 v18, v52, v18
	v_mul_f16_sdwa v46, v80, v24 dst_sel:DWORD dst_unused:UNUSED_PAD src0_sel:WORD_1 src1_sel:DWORD
	v_mov_b32_e32 v69, 0x3b29
	v_pk_add_f16 v130, v8, v9 neg_lo:[0,1] neg_hi:[0,1]
	v_fmamk_f16 v60, v64, 0xb461, v42
	v_add_f16_e32 v19, v25, v19
	v_add_f16_e32 v18, v59, v18
	v_fmamk_f16 v25, v68, 0xbacd, v46
	v_mul_f16_sdwa v51, v80, v69 dst_sel:DWORD dst_unused:UNUSED_PAD src0_sel:WORD_1 src1_sel:DWORD
	v_pk_add_f16 v71, v9, v8
	v_mul_f16_sdwa v50, v130, v44 dst_sel:DWORD dst_unused:UNUSED_PAD src0_sel:WORD_1 src1_sel:DWORD
	v_add_f16_e32 v19, v60, v19
	v_add_f16_e32 v18, v25, v18
	v_fmamk_f16 v25, v68, 0x3722, v51
	v_mul_f16_sdwa v59, v45, v43 dst_sel:DWORD dst_unused:UNUSED_PAD src0_sel:WORD_1 src1_sel:DWORD
	v_fmamk_f16 v52, v71, 0xbbdd, v50
	v_mul_f16_sdwa v72, v45, v21 dst_sel:DWORD dst_unused:UNUSED_PAD src0_sel:WORD_1 src1_sel:DWORD
	v_mul_f16_sdwa v61, v67, v23 dst_sel:DWORD dst_unused:UNUSED_PAD src0_sel:WORD_1 src1_sel:DWORD
	v_add_f16_e32 v25, v25, v19
	v_mul_f16_sdwa v73, v67, v44 dst_sel:DWORD dst_unused:UNUSED_PAD src0_sel:WORD_1 src1_sel:DWORD
	v_add_f16_e32 v19, v52, v18
	v_fmamk_f16 v18, v57, 0x3722, v59
	v_mov_b32_e32 v52, 0x31e1
	v_fmamk_f16 v60, v57, 0x2de8, v72
	v_fmamk_f16 v65, v56, 0xb8d2, v61
	v_mov_b32_e32 v62, 0x35c8
	v_add_f16_e32 v18, v18, v4
	v_mul_f16_sdwa v63, v49, v52 dst_sel:DWORD dst_unused:UNUSED_PAD src0_sel:WORD_1 src1_sel:DWORD
	v_add_f16_e32 v66, v60, v4
	v_fmamk_f16 v70, v56, 0xbbdd, v73
	v_mul_f16_sdwa v74, v49, v58 dst_sel:DWORD dst_unused:UNUSED_PAD src0_sel:WORD_1 src1_sel:DWORD
	v_add_f16_e32 v18, v65, v18
	v_fmamk_f16 v65, v54, 0xbbdd, v63
	v_mul_f16_sdwa v60, v48, v58 dst_sel:DWORD dst_unused:UNUSED_PAD src0_sel:WORD_1 src1_sel:DWORD
	v_mov_b32_e32 v84, 0x3964
	v_mul_f16_sdwa v52, v130, v62 dst_sel:DWORD dst_unused:UNUSED_PAD src0_sel:WORD_1 src1_sel:DWORD
	v_add_f16_e32 v66, v70, v66
	v_add_f16_e32 v18, v65, v18
	v_fmamk_f16 v65, v54, 0xb461, v74
	v_fmamk_f16 v70, v53, 0xb461, v60
	v_mul_f16_sdwa v77, v48, v62 dst_sel:DWORD dst_unused:UNUSED_PAD src0_sel:WORD_1 src1_sel:DWORD
	v_mul_f16_sdwa v62, v47, v84 dst_sel:DWORD dst_unused:UNUSED_PAD src0_sel:WORD_1 src1_sel:DWORD
	v_fmamk_f16 v75, v71, 0x3b76, v52
	v_add_f16_e32 v66, v65, v66
	v_add_f16_e32 v70, v70, v18
	v_fmamk_f16 v76, v53, 0x3b76, v77
	v_fmamk_f16 v82, v55, 0x39e9, v62
	v_mul_f16_sdwa v79, v47, v43 dst_sel:DWORD dst_unused:UNUSED_PAD src0_sel:WORD_1 src1_sel:DWORD
	v_mul_f16_sdwa v65, v97, v27 dst_sel:DWORD dst_unused:UNUSED_PAD src0_sel:WORD_1 src1_sel:DWORD
	v_add_f16_e32 v18, v75, v25
	v_add_f16_e32 v25, v76, v66
	;; [unrolled: 1-line block ×3, first 2 shown]
	v_fmamk_f16 v75, v55, 0x3722, v79
	v_mul_f16_sdwa v76, v97, v24 dst_sel:DWORD dst_unused:UNUSED_PAD src0_sel:WORD_1 src1_sel:DWORD
	v_fmamk_f16 v82, v64, 0x3b76, v65
	v_mul_f16_sdwa v66, v80, v21 dst_sel:DWORD dst_unused:UNUSED_PAD src0_sel:WORD_1 src1_sel:DWORD
	v_mov_b32_e32 v83, 0x3a62
	v_add_f16_e32 v25, v75, v25
	v_fmamk_f16 v85, v64, 0xbacd, v76
	v_add_f16_e32 v70, v82, v70
	v_fmamk_f16 v82, v68, 0x2de8, v66
	v_mul_f16_sdwa v75, v80, v83 dst_sel:DWORD dst_unused:UNUSED_PAD src0_sel:WORD_1 src1_sel:DWORD
	v_mul_f16_sdwa v99, v45, v23 dst_sel:DWORD dst_unused:UNUSED_PAD src0_sel:WORD_1 src1_sel:DWORD
	;; [unrolled: 1-line block ×3, first 2 shown]
	v_add_f16_e32 v25, v85, v25
	v_add_f16_e32 v70, v82, v70
	v_fmamk_f16 v82, v68, 0xb8d2, v75
	v_fmamk_f16 v85, v57, 0xb8d2, v99
	v_mul_f16_sdwa v100, v67, v58 dst_sel:DWORD dst_unused:UNUSED_PAD src0_sel:WORD_1 src1_sel:DWORD
	v_fmamk_f16 v58, v57, 0xbacd, v114
	v_mul_f16_sdwa v115, v67, v69 dst_sel:DWORD dst_unused:UNUSED_PAD src0_sel:WORD_1 src1_sel:DWORD
	v_add_f16_e32 v25, v82, v25
	v_add_f16_e32 v82, v85, v4
	v_fmamk_f16 v85, v56, 0xb461, v100
	v_add_f16_e32 v86, v58, v4
	v_fmamk_f16 v87, v56, 0x3722, v115
	v_mul_f16_sdwa v101, v49, v27 dst_sel:DWORD dst_unused:UNUSED_PAD src0_sel:WORD_1 src1_sel:DWORD
	v_mul_f16_sdwa v117, v49, v21 dst_sel:DWORD dst_unused:UNUSED_PAD src0_sel:WORD_1 src1_sel:DWORD
	v_add_f16_e32 v21, v85, v82
	v_mul_f16_sdwa v92, v48, v24 dst_sel:DWORD dst_unused:UNUSED_PAD src0_sel:WORD_1 src1_sel:DWORD
	v_add_f16_e32 v82, v87, v86
	v_fmamk_f16 v85, v54, 0x3b76, v101
	v_fmamk_f16 v86, v54, 0x2de8, v117
	v_mul_f16_sdwa v121, v48, v83 dst_sel:DWORD dst_unused:UNUSED_PAD src0_sel:WORD_1 src1_sel:DWORD
	v_mov_b32_e32 v109, 0x3bf7
	v_mul_f16_sdwa v58, v130, v24 dst_sel:DWORD dst_unused:UNUSED_PAD src0_sel:WORD_1 src1_sel:DWORD
	v_add_f16_e32 v21, v85, v21
	v_add_f16_e32 v24, v86, v82
	v_fmamk_f16 v82, v53, 0xbacd, v92
	v_fmamk_f16 v83, v53, 0xb8d2, v121
	v_mul_f16_sdwa v95, v47, v109 dst_sel:DWORD dst_unused:UNUSED_PAD src0_sel:WORD_1 src1_sel:DWORD
	v_mul_f16_sdwa v124, v47, v27 dst_sel:DWORD dst_unused:UNUSED_PAD src0_sel:WORD_1 src1_sel:DWORD
	v_fmamk_f16 v85, v71, 0xbacd, v58
	v_add_f16_e32 v82, v82, v21
	v_add_f16_e32 v24, v83, v24
	v_fmamk_f16 v83, v55, 0x2de8, v95
	v_fmamk_f16 v86, v55, 0x3b76, v124
	v_mul_f16_sdwa v96, v97, v20 dst_sel:DWORD dst_unused:UNUSED_PAD src0_sel:WORD_1 src1_sel:DWORD
	v_mul_f16_sdwa v116, v97, v44 dst_sel:DWORD dst_unused:UNUSED_PAD src0_sel:WORD_1 src1_sel:DWORD
	v_add_f16_e32 v21, v85, v70
	v_add_f16_e32 v20, v83, v82
	;; [unrolled: 1-line block ×3, first 2 shown]
	v_fmamk_f16 v70, v64, 0x39e9, v96
	v_fmamk_f16 v83, v64, 0xbbdd, v116
	v_mul_f16_sdwa v98, v80, v44 dst_sel:DWORD dst_unused:UNUSED_PAD src0_sel:WORD_1 src1_sel:DWORD
	v_mul_f16_sdwa v120, v80, v84 dst_sel:DWORD dst_unused:UNUSED_PAD src0_sel:WORD_1 src1_sel:DWORD
	;; [unrolled: 1-line block ×3, first 2 shown]
	v_add_f16_e32 v20, v70, v20
	v_add_f16_e32 v24, v83, v24
	v_fmamk_f16 v70, v68, 0xbbdd, v98
	v_fmamk_f16 v83, v68, 0x39e9, v120
	v_mul_f16_sdwa v91, v130, v69 dst_sel:DWORD dst_unused:UNUSED_PAD src0_sel:WORD_1 src1_sel:DWORD
	v_mul_f16_sdwa v118, v130, v78 dst_sel:DWORD dst_unused:UNUSED_PAD src0_sel:WORD_1 src1_sel:DWORD
	v_fmamk_f16 v85, v71, 0x39e9, v82
	v_add_f16_e32 v70, v70, v20
	v_add_f16_e32 v24, v83, v24
	v_fmamk_f16 v83, v71, 0x3722, v91
	v_lshrrev_b32_e32 v136, 16, v57
	v_mul_f16_e32 v69, 0xb5c8, v45
	v_fmamk_f16 v86, v71, 0xb461, v118
	v_add_f16_e32 v20, v85, v25
	v_add_f16_e32 v25, v83, v70
	v_mul_f16_e32 v83, 0xb964, v45
	v_fma_f16 v85, v136, 0x3b76, -v69
	v_add_f16_e32 v24, v86, v24
	v_lshrrev_b32_e32 v140, 16, v56
	v_mul_f16_e32 v70, 0xb964, v67
	v_fma_f16 v86, v136, 0x39e9, -v83
	v_mul_f16_e32 v87, 0xbb29, v45
	v_add_f16_sdwa v89, v85, v4 dst_sel:DWORD dst_unused:UNUSED_PAD src0_sel:DWORD src1_sel:WORD_1
	v_mul_f16_e32 v85, 0xbbf7, v67
	v_fma_f16 v90, v140, 0x39e9, -v70
	v_add_f16_sdwa v86, v86, v4 dst_sel:DWORD dst_unused:UNUSED_PAD src0_sel:DWORD src1_sel:WORD_1
	v_fma_f16 v93, v136, 0x3722, -v87
	v_mul_f16_e32 v88, 0xba62, v67
	v_fma_f16 v94, v140, 0x2de8, -v85
	v_mul_f16_e32 v102, 0xbbf7, v45
	v_add_f16_e32 v90, v90, v89
	v_add_f16_sdwa v89, v93, v4 dst_sel:DWORD dst_unused:UNUSED_PAD src0_sel:DWORD src1_sel:WORD_1
	v_fma_f16 v93, v140, 0xb8d2, -v88
	v_add_f16_e32 v86, v94, v86
	v_fma_f16 v94, v136, 0x2de8, -v102
	v_mul_f16_sdwa v107, v45, v78 dst_sel:DWORD dst_unused:UNUSED_PAD src0_sel:WORD_1 src1_sel:DWORD
	v_mul_f16_e32 v103, 0xb1e1, v67
	v_mul_f16_e32 v122, 0xbbb2, v45
	v_add_f16_e32 v78, v93, v89
	v_add_f16_sdwa v89, v94, v4 dst_sel:DWORD dst_unused:UNUSED_PAD src0_sel:DWORD src1_sel:WORD_1
	v_fmamk_f16 v93, v57, 0xb461, v107
	v_fma_f16 v94, v140, 0xbbdd, -v103
	v_mul_f16_sdwa v108, v67, v81 dst_sel:DWORD dst_unused:UNUSED_PAD src0_sel:WORD_1 src1_sel:DWORD
	v_fma_f16 v81, v136, 0xb461, -v122
	v_mul_f16_e32 v125, 0x3836, v67
	v_mul_f16_e32 v138, 0xba62, v45
	v_add_f16_e32 v93, v93, v4
	v_fmamk_f16 v104, v56, 0xbacd, v108
	v_add_f16_sdwa v81, v81, v4 dst_sel:DWORD dst_unused:UNUSED_PAD src0_sel:DWORD src1_sel:WORD_1
	v_fma_f16 v105, v140, 0xbacd, -v125
	v_add_f16_e32 v106, v94, v89
	v_fma_f16 v89, v136, 0xb8d2, -v138
	v_mul_f16_e32 v154, 0xb836, v45
	v_pk_mul_f16 v45, 0xb1e1, v45 op_sel_hi:[0,1]
	v_add_f16_e32 v93, v104, v93
	v_add_f16_e32 v104, v105, v81
	v_add_f16_sdwa v94, v89, v4 dst_sel:DWORD dst_unused:UNUSED_PAD src0_sel:DWORD src1_sel:WORD_1
	v_mul_f16_e32 v141, 0x3bb2, v67
	v_fma_f16 v81, v136, 0xbacd, -v154
	v_mul_f16_e32 v155, 0x3b29, v67
	v_pk_fma_f16 v89, 0xbbdd, v57, v45 op_sel:[0,0,1] op_sel_hi:[0,1,0] neg_lo:[0,0,1] neg_hi:[0,0,1]
	v_pk_mul_f16 v67, 0x35c8, v67 op_sel_hi:[0,1]
	v_fma_f16 v105, v140, 0xb461, -v141
	v_add_f16_sdwa v110, v81, v4 dst_sel:DWORD dst_unused:UNUSED_PAD src0_sel:DWORD src1_sel:WORD_1
	v_fma_f16 v111, v140, 0x3722, -v155
	v_pk_add_f16 v112, v89, v4
	v_pk_fma_f16 v113, 0x3b76, v56, v67 op_sel:[0,0,1] op_sel_hi:[0,1,0] neg_lo:[0,0,1] neg_hi:[0,0,1]
	v_lshrrev_b32_e32 v145, 16, v54
	v_mul_f16_e32 v81, 0xbb29, v49
	v_mul_f16_e32 v89, 0xba62, v49
	v_add_f16_e32 v105, v105, v94
	v_add_f16_e32 v110, v111, v110
	v_pk_add_f16 v111, v113, v112
	v_fma_f16 v119, v145, 0x3722, -v81
	v_fma_f16 v123, v145, 0xb8d2, -v89
	v_mul_f16_e32 v94, 0x31e1, v49
	v_mul_f16_e32 v112, 0x3bb2, v49
	v_mul_f16_sdwa v113, v49, v84 dst_sel:DWORD dst_unused:UNUSED_PAD src0_sel:WORD_1 src1_sel:DWORD
	v_add_f16_e32 v90, v119, v90
	v_add_f16_e32 v86, v123, v86
	v_fma_f16 v84, v145, 0xbbdd, -v94
	v_fma_f16 v119, v145, 0xb461, -v112
	v_fmamk_f16 v123, v54, 0x39e9, v113
	v_mul_f16_e32 v132, 0x3964, v49
	v_mul_f16_e32 v146, 0xb5c8, v49
	v_add_f16_e32 v78, v84, v78
	v_add_f16_e32 v126, v119, v106
	;; [unrolled: 1-line block ×3, first 2 shown]
	v_fma_f16 v93, v145, 0x39e9, -v132
	v_fma_f16 v106, v145, 0x3b76, -v146
	v_mul_f16_e32 v160, 0xbbf7, v49
	v_pk_mul_f16 v49, 0xb836, v49 op_sel_hi:[0,1]
	v_lshrrev_b32_e32 v147, 16, v53
	v_mul_f16_e32 v84, 0xbbf7, v48
	v_add_f16_e32 v104, v93, v104
	v_add_f16_e32 v128, v106, v105
	v_fma_f16 v105, v145, 0x2de8, -v160
	v_pk_fma_f16 v119, 0xbacd, v54, v49 op_sel:[0,0,1] op_sel_hi:[0,1,0] neg_lo:[0,0,1] neg_hi:[0,0,1]
	v_fma_f16 v127, v147, 0x2de8, -v84
	v_mul_f16_e32 v93, 0xb1e1, v48
	v_mul_f16_e32 v106, 0x3bb2, v48
	v_add_f16_e32 v110, v105, v110
	v_pk_add_f16 v111, v119, v111
	v_add_f16_e32 v90, v127, v90
	v_fma_f16 v105, v147, 0xbbdd, -v93
	v_fma_f16 v129, v147, 0xb461, -v106
	v_mul_f16_e32 v119, 0x35c8, v48
	v_mul_f16_sdwa v127, v48, v43 dst_sel:DWORD dst_unused:UNUSED_PAD src0_sel:WORD_1 src1_sel:DWORD
	v_mul_f16_e32 v135, 0xbb29, v48
	v_add_f16_e32 v43, v105, v86
	v_add_f16_e32 v78, v129, v78
	v_fma_f16 v86, v147, 0x3b76, -v119
	v_fmamk_f16 v105, v53, 0x3722, v127
	v_fma_f16 v129, v147, 0x3722, -v135
	v_mul_f16_e32 v153, 0xb836, v48
	v_mul_f16_e32 v163, 0x3a62, v48
	v_add_f16_e32 v126, v86, v126
	v_add_f16_e32 v123, v105, v123
	;; [unrolled: 1-line block ×3, first 2 shown]
	v_fma_f16 v129, v147, 0xbacd, -v153
	v_fma_f16 v131, v147, 0xb8d2, -v163
	v_pk_mul_f16 v48, 0x3964, v48 op_sel_hi:[0,1]
	v_lshrrev_b32_e32 v148, 16, v55
	v_mul_f16_e32 v86, 0xbbb2, v47
	v_mul_f16_e32 v105, 0x3836, v47
	v_add_f16_e32 v129, v129, v128
	v_add_f16_e32 v133, v131, v110
	v_pk_fma_f16 v131, 0x39e9, v53, v48 op_sel:[0,0,1] op_sel_hi:[0,1,0] neg_lo:[0,0,1] neg_hi:[0,0,1]
	v_fma_f16 v134, v148, 0xb461, -v86
	v_fma_f16 v137, v148, 0xbacd, -v105
	v_mul_f16_e32 v110, 0x3964, v47
	v_mul_f16_e32 v128, 0xbb29, v47
	v_pk_add_f16 v111, v131, v111
	v_add_f16_e32 v134, v134, v90
	v_add_f16_e32 v43, v137, v43
	v_fma_f16 v90, v148, 0x39e9, -v110
	v_fma_f16 v137, v148, 0x3722, -v128
	v_mul_f16_sdwa v131, v47, v44 dst_sel:DWORD dst_unused:UNUSED_PAD src0_sel:WORD_1 src1_sel:DWORD
	v_mul_f16_e32 v143, 0xb1e1, v47
	v_mul_f16_e32 v157, 0x3bf7, v47
	v_add_f16_e32 v44, v90, v78
	v_add_f16_e32 v78, v137, v126
	v_fmamk_f16 v90, v55, 0xbbdd, v131
	v_fma_f16 v126, v148, 0xbbdd, -v143
	v_mul_f16_e32 v165, 0xb5c8, v47
	v_pk_mul_f16 v47, 0xba62, v47 op_sel_hi:[0,1]
	v_lshrrev_b32_e32 v150, 16, v64
	v_add_f16_e32 v139, v90, v123
	v_add_f16_e32 v126, v126, v104
	v_fma_f16 v123, v148, 0x3b76, -v165
	v_pk_fma_f16 v142, 0xb8d2, v55, v47 op_sel:[0,0,1] op_sel_hi:[0,1,0] neg_lo:[0,0,1] neg_hi:[0,0,1]
	v_mul_f16_e32 v90, 0xba62, v97
	v_mul_f16_e32 v104, 0x3bb2, v97
	v_fma_f16 v137, v148, 0x2de8, -v157
	v_add_f16_e32 v144, v123, v133
	v_pk_add_f16 v111, v142, v111
	v_fma_f16 v142, v150, 0xb8d2, -v90
	v_fma_f16 v149, v150, 0xb461, -v104
	v_mul_f16_e32 v123, 0xb5c8, v97
	v_mul_f16_e32 v133, 0xb836, v97
	v_add_f16_e32 v129, v137, v129
	v_mul_f16_sdwa v137, v97, v109 dst_sel:DWORD dst_unused:UNUSED_PAD src0_sel:WORD_1 src1_sel:DWORD
	v_add_f16_e32 v134, v142, v134
	v_add_f16_e32 v43, v149, v43
	v_fma_f16 v109, v150, 0x3b76, -v123
	v_fma_f16 v142, v150, 0xbacd, -v133
	v_mul_f16_e32 v149, 0x3bf7, v97
	v_mul_f16_e32 v162, 0xb964, v97
	v_fmamk_f16 v151, v64, 0x2de8, v137
	v_add_f16_e32 v44, v109, v44
	v_add_f16_e32 v78, v142, v78
	v_fma_f16 v109, v150, 0x2de8, -v149
	v_fma_f16 v142, v150, 0x39e9, -v162
	v_mul_f16_e32 v166, 0xb1e1, v97
	v_pk_mul_f16 v158, 0x3b29, v97 op_sel_hi:[0,1]
	v_lshrrev_b32_e32 v156, 16, v68
	v_mul_f16_e32 v97, 0xb836, v80
	v_add_f16_e32 v139, v151, v139
	v_add_f16_e32 v126, v109, v126
	v_fma_f16 v151, v150, 0xbbdd, -v166
	v_add_f16_e32 v152, v142, v129
	v_pk_fma_f16 v142, 0x3722, v64, v158 op_sel:[0,0,1] op_sel_hi:[0,1,0] neg_lo:[0,0,1] neg_hi:[0,0,1]
	v_fma_f16 v159, v156, 0xbacd, -v97
	v_mul_f16_e32 v109, 0x3b29, v80
	v_mul_f16_e32 v129, 0xbbf7, v80
	v_add_f16_e32 v161, v151, v144
	v_pk_add_f16 v167, v142, v111
	v_add_f16_e32 v134, v159, v134
	v_fma_f16 v111, v156, 0x3722, -v109
	v_mul_f16_e32 v142, 0x3a62, v80
	v_fma_f16 v159, v156, 0x2de8, -v129
	v_mul_f16_sdwa v144, v80, v27 dst_sel:DWORD dst_unused:UNUSED_PAD src0_sel:WORD_1 src1_sel:DWORD
	v_mul_f16_e32 v151, 0xb5c8, v80
	v_pk_fma_f16 v45, 0xbbdd, v57, v45 op_sel:[0,0,1] op_sel_hi:[0,1,0]
	v_add_f16_e32 v27, v111, v43
	v_fma_f16 v43, v156, 0xb8d2, -v142
	v_add_f16_e32 v169, v159, v44
	v_fmamk_f16 v44, v68, 0x3b76, v144
	v_fma_f16 v111, v156, 0x3b76, -v151
	v_mul_f16_e32 v164, 0xb1e1, v80
	v_mul_f16_e32 v168, 0x3964, v80
	v_pk_add_f16 v45, v45, v4
	v_pk_fma_f16 v67, 0x3b76, v56, v67 op_sel:[0,0,1] op_sel_hi:[0,1,0]
	v_add_f16_e32 v43, v43, v78
	v_add_f16_e32 v170, v44, v139
	;; [unrolled: 1-line block ×3, first 2 shown]
	v_fma_f16 v44, v156, 0xbbdd, -v164
	v_fma_f16 v126, v156, 0x39e9, -v168
	v_pk_mul_f16 v80, 0xbbb2, v80 op_sel_hi:[0,1]
	v_lshrrev_b32_e32 v159, 16, v71
	v_mul_f16_e32 v111, 0xb1e1, v130
	v_pk_add_f16 v45, v67, v45
	v_pk_fma_f16 v49, 0xbacd, v54, v49 op_sel:[0,0,1] op_sel_hi:[0,1,0]
	v_add_f16_e32 v171, v44, v152
	v_pk_fma_f16 v44, 0xb461, v68, v80 op_sel:[0,0,1] op_sel_hi:[0,1,0] neg_lo:[0,0,1] neg_hi:[0,0,1]
	v_add_f16_e32 v172, v126, v161
	v_fma_f16 v152, v159, 0xbbdd, -v111
	v_mul_f16_e32 v126, 0x35c8, v130
	v_mul_f16_e32 v139, 0xb836, v130
	v_pk_add_f16 v45, v49, v45
	v_pk_fma_f16 v48, 0x39e9, v53, v48 op_sel:[0,0,1] op_sel_hi:[0,1,0]
	v_pk_add_f16 v67, v44, v167
	v_add_f16_e32 v44, v152, v134
	v_fma_f16 v49, v159, 0x3b76, -v126
	v_fma_f16 v134, v159, 0xbacd, -v139
	v_mul_f16_e32 v152, 0x3964, v130
	v_mul_f16_e32 v161, 0xba62, v130
	v_pk_add_f16 v48, v48, v45
	v_pk_fma_f16 v167, 0xb8d2, v55, v47 op_sel:[0,0,1] op_sel_hi:[0,1,0]
	v_add_f16_e32 v45, v49, v27
	v_fma_f16 v27, v159, 0x39e9, -v152
	v_fma_f16 v49, v159, 0xb8d2, -v161
	v_add_f16_e32 v47, v134, v169
	v_pk_add_f16 v134, v167, v48
	v_pk_fma_f16 v158, 0x3722, v64, v158 op_sel:[0,0,1] op_sel_hi:[0,1,0]
	s_load_dwordx2 s[2:3], s[4:5], 0x20
	v_add_f16_e32 v48, v27, v43
	v_add_f16_e32 v49, v49, v78
	v_mul_f16_e32 v167, 0x3b29, v130
	v_mul_f16_e32 v169, 0xbbb2, v130
	v_pk_add_f16 v27, v158, v134
	v_pk_fma_f16 v43, 0xb461, v68, v80 op_sel:[0,0,1] op_sel_hi:[0,1,0]
	v_pk_mul_f16 v78, 0x3bf7, v130 op_sel_hi:[0,1]
	v_mul_f16_sdwa v158, v130, v23 dst_sel:DWORD dst_unused:UNUSED_PAD src0_sel:WORD_1 src1_sel:DWORD
	v_fma_f16 v23, v159, 0x3722, -v167
	v_fma_f16 v80, v159, 0xb461, -v169
	v_pk_add_f16 v27, v43, v27
	v_pk_fma_f16 v43, 0x2de8, v71, v78 op_sel:[0,0,1] op_sel_hi:[0,1,0] neg_lo:[0,0,1] neg_hi:[0,0,1]
	v_fmamk_f16 v130, v71, 0xb8d2, v158
	v_pk_fma_f16 v134, 0x2de8, v71, v78 op_sel:[0,0,1] op_sel_hi:[0,1,0]
	v_add_f16_e32 v78, v23, v171
	v_add_f16_e32 v80, v80, v172
	v_pk_add_f16 v67, v43, v67
	v_add_f16_e32 v23, v130, v170
	v_pk_add_f16 v27, v134, v27
	v_mul_lo_u16 v43, v40, 17
	s_waitcnt lgkmcnt(0)
	s_barrier
	buffer_gl0_inv
	s_and_saveexec_b32 s0, vcc_lo
	s_cbranch_execz .LBB0_7
; %bb.6:
	v_mul_f16_e32 v181, 0xbacd, v136
	v_mul_f16_e32 v180, 0xbacd, v57
	;; [unrolled: 1-line block ×5, first 2 shown]
	v_add_f16_e32 v154, v154, v181
	v_mul_f16_e32 v181, 0x3722, v140
	v_mul_f16_e32 v174, 0x2de8, v57
	;; [unrolled: 1-line block ×4, first 2 shown]
	v_add_f16_sdwa v154, v154, v4 dst_sel:DWORD dst_unused:UNUSED_PAD src0_sel:DWORD src1_sel:WORD_1
	v_add_f16_e32 v155, v155, v181
	v_mul_f16_e32 v181, 0x2de8, v145
	v_mul_f16_e32 v57, 0x39e9, v56
	;; [unrolled: 1-line block ×4, first 2 shown]
	v_add_f16_e32 v154, v155, v154
	v_add_f16_e32 v155, v160, v181
	v_mul_f16_e32 v181, 0xb8d2, v147
	v_mul_f16_e32 v186, 0xbbdd, v56
	;; [unrolled: 1-line block ×5, first 2 shown]
	v_add_f16_e32 v154, v155, v154
	v_sub_f16_e32 v114, v180, v114
	v_add_f16_e32 v163, v163, v181
	v_mul_f16_e32 v181, 0x3b76, v148
	v_sub_f16_e32 v56, v56, v115
	v_mul_f16_e32 v179, 0xb8d2, v136
	v_add_f16_e32 v114, v114, v4
	v_add_f16_e32 v154, v163, v154
	v_mul_f16_e32 v163, 0x2de8, v54
	v_add_f16_e32 v165, v165, v181
	v_mul_f16_e32 v134, 0x3b76, v136
	;; [unrolled: 2-line block ×3, first 2 shown]
	v_sub_f16_e32 v117, v163, v117
	v_add_f16_e32 v154, v165, v154
	v_mul_f16_e32 v165, 0xb8d2, v53
	v_mul_f16_e32 v171, 0x39e9, v136
	v_add_f16_e32 v114, v166, v114
	v_add_f16_e32 v56, v117, v56
	v_mul_f16_e32 v117, 0x39e9, v156
	v_sub_f16_e32 v121, v165, v121
	v_mul_f16_e32 v173, 0x3722, v136
	v_add_f16_e32 v114, v114, v154
	v_mul_f16_e32 v154, 0x3b76, v55
	v_add_f16_e32 v117, v168, v117
	v_add_f16_e32 v56, v121, v56
	v_mul_f16_e32 v175, 0x2de8, v136
	v_mul_f16_e32 v177, 0xb461, v136
	v_sub_f16_e32 v124, v154, v124
	v_add_f16_e32 v114, v117, v114
	v_mul_f16_e32 v117, 0xbbdd, v64
	v_mul_f16_e32 v136, 0x39e9, v140
	;; [unrolled: 1-line block ×7, first 2 shown]
	v_add_f16_e32 v56, v124, v56
	v_add_f16_e32 v138, v138, v179
	v_sub_f16_e32 v116, v117, v116
	v_mul_f16_e32 v117, 0x39e9, v68
	v_mul_f16_e32 v155, 0x3722, v145
	;; [unrolled: 1-line block ×7, first 2 shown]
	v_add_f16_e32 v140, v141, v140
	v_add_f16_sdwa v138, v138, v4 dst_sel:DWORD dst_unused:UNUSED_PAD src0_sel:DWORD src1_sel:WORD_1
	v_add_f16_e32 v56, v116, v56
	v_sub_f16_e32 v117, v117, v120
	v_mul_f16_e32 v120, 0xb461, v159
	v_add_f16_e32 v145, v146, v145
	v_add_f16_e32 v138, v140, v138
	v_sub_f16_e32 v99, v178, v99
	v_add_f16_e32 v56, v117, v56
	v_add_f16_e32 v120, v169, v120
	v_mul_f16_e32 v169, 0xbacd, v147
	v_mul_f16_e32 v117, 0xb461, v71
	v_add_f16_e32 v138, v145, v138
	v_mul_f16_e32 v160, 0x3722, v54
	v_mul_f16_e32 v180, 0xb8d2, v54
	v_add_f16_e32 v153, v153, v169
	v_sub_f16_e32 v117, v117, v118
	v_mul_f16_e32 v118, 0x2de8, v148
	v_mul_f16_e32 v181, 0xbbdd, v54
	;; [unrolled: 1-line block ×5, first 2 shown]
	v_add_f16_e32 v138, v153, v138
	v_add_f16_e32 v118, v157, v118
	;; [unrolled: 1-line block ×3, first 2 shown]
	v_mul_f16_e32 v117, 0x39e9, v150
	v_sub_f16_e32 v100, v190, v100
	v_add_f16_e32 v99, v99, v4
	v_sub_f16_e32 v107, v176, v107
	v_mul_f16_e32 v154, 0x2de8, v53
	v_mul_f16_e32 v179, 0xbbdd, v53
	;; [unrolled: 1-line block ×6, first 2 shown]
	v_add_f16_e32 v118, v118, v138
	v_add_f16_e32 v117, v162, v117
	v_mul_f16_e32 v162, 0xbbdd, v156
	v_add_f16_e32 v99, v100, v99
	v_sub_f16_e32 v54, v54, v101
	v_add_f16_e32 v122, v122, v177
	v_sub_f16_e32 v108, v188, v108
	v_add_f16_e32 v107, v107, v4
	v_add_f16_e32 v102, v102, v175
	v_mul_f16_e32 v153, 0xb461, v55
	v_add_f16_e32 v114, v120, v114
	v_mul_f16_e32 v120, 0xbacd, v55
	v_mul_f16_e32 v178, 0x39e9, v55
	v_add_f16_e32 v117, v117, v118
	v_mul_f16_e32 v118, 0x3722, v55
	v_add_f16_e32 v162, v164, v162
	v_mul_f16_e32 v100, 0xbbdd, v55
	v_mul_f16_e32 v55, 0x2de8, v55
	v_add_f16_e32 v54, v54, v99
	v_sub_f16_e32 v53, v53, v92
	v_add_f16_e32 v125, v125, v189
	v_add_f16_sdwa v122, v122, v4 dst_sel:DWORD dst_unused:UNUSED_PAD src0_sel:DWORD src1_sel:WORD_1
	v_add_f16_e32 v107, v108, v107
	v_sub_f16_e32 v108, v168, v113
	v_add_f16_sdwa v102, v102, v4 dst_sel:DWORD dst_unused:UNUSED_PAD src0_sel:DWORD src1_sel:WORD_1
	v_add_f16_e32 v103, v103, v187
	v_mul_f16_e32 v124, 0x2de8, v147
	v_mul_f16_e32 v141, 0xbbdd, v147
	;; [unrolled: 1-line block ×5, first 2 shown]
	v_add_f16_e32 v117, v162, v117
	v_mul_f16_e32 v162, 0xb8d2, v64
	v_mul_f16_e32 v99, 0xb461, v64
	;; [unrolled: 1-line block ×3, first 2 shown]
	v_add_f16_e32 v53, v53, v54
	v_mul_f16_e32 v54, 0xbacd, v64
	v_sub_f16_e32 v55, v55, v95
	v_add_f16_e32 v122, v125, v122
	v_mul_f16_e32 v125, 0x2de8, v64
	v_mul_f16_e32 v64, 0x39e9, v64
	v_add_f16_e32 v121, v132, v121
	v_add_f16_e32 v107, v108, v107
	v_sub_f16_e32 v108, v169, v127
	v_add_f16_e32 v102, v103, v102
	v_add_f16_e32 v103, v112, v165
	v_sub_f16_e32 v72, v174, v72
	v_mul_f16_e32 v164, 0x3722, v148
	v_mul_f16_e32 v101, 0x3722, v159
	v_add_f16_e32 v53, v55, v53
	v_sub_f16_e32 v64, v64, v96
	v_add_f16_e32 v121, v121, v122
	v_mul_f16_e32 v122, 0xbbdd, v68
	v_add_f16_e32 v135, v135, v147
	v_add_f16_e32 v107, v108, v107
	v_sub_f16_e32 v100, v100, v131
	v_add_f16_e32 v102, v103, v102
	v_add_f16_e32 v103, v119, v145
	;; [unrolled: 1-line block ×3, first 2 shown]
	v_sub_f16_e32 v73, v186, v73
	v_pk_add_f16 v5, v5, v4
	v_mul_f16_e32 v157, 0xb461, v148
	v_mul_f16_e32 v138, 0xbacd, v148
	;; [unrolled: 1-line block ×4, first 2 shown]
	v_add_f16_e32 v101, v167, v101
	v_mul_f16_e32 v167, 0xb8d2, v150
	v_mul_f16_e32 v177, 0xb461, v150
	;; [unrolled: 1-line block ×7, first 2 shown]
	v_add_f16_e32 v53, v64, v53
	v_mul_f16_e32 v64, 0x2de8, v68
	v_sub_f16_e32 v98, v122, v98
	v_add_f16_e32 v121, v135, v121
	v_mul_f16_e32 v135, 0xb8d2, v68
	v_mul_f16_e32 v68, 0x3b76, v68
	v_add_f16_e32 v100, v100, v107
	v_sub_f16_e32 v107, v125, v137
	v_add_f16_e32 v102, v103, v102
	v_add_f16_e32 v103, v128, v164
	;; [unrolled: 1-line block ×3, first 2 shown]
	v_sub_f16_e32 v73, v166, v74
	v_pk_add_f16 v5, v14, v5
	v_add_f16_e32 v143, v143, v148
	v_mul_f16_e32 v148, 0xb8d2, v156
	v_add_f16_e32 v101, v101, v117
	v_mul_f16_e32 v117, 0xbbdd, v71
	;; [unrolled: 2-line block ×4, first 2 shown]
	v_mul_f16_e32 v176, 0xbacd, v71
	v_mul_f16_e32 v188, 0x39e9, v71
	;; [unrolled: 1-line block ×3, first 2 shown]
	v_add_f16_e32 v74, v107, v100
	v_sub_f16_e32 v68, v68, v144
	v_add_f16_e32 v100, v103, v102
	v_add_f16_e32 v95, v133, v95
	;; [unrolled: 1-line block ×3, first 2 shown]
	v_sub_f16_e32 v73, v146, v77
	v_pk_add_f16 v5, v15, v5
	v_add_f16_e32 v68, v68, v74
	v_sub_f16_e32 v71, v71, v158
	v_add_f16_e32 v74, v95, v100
	v_add_f16_e32 v77, v142, v148
	;; [unrolled: 1-line block ×3, first 2 shown]
	v_sub_f16_e32 v73, v118, v79
	v_add_f16_e32 v87, v87, v173
	v_sub_f16_e32 v31, v170, v31
	v_pk_add_f16 v5, v12, v5
	v_add_f16_e32 v68, v71, v68
	v_add_f16_e32 v71, v77, v74
	;; [unrolled: 1-line block ×3, first 2 shown]
	v_sub_f16_e32 v54, v54, v76
	v_add_f16_sdwa v73, v87, v4 dst_sel:DWORD dst_unused:UNUSED_PAD src0_sel:DWORD src1_sel:WORD_1
	v_add_f16_e32 v74, v88, v185
	v_sub_f16_e32 v59, v172, v59
	v_add_f16_e32 v31, v31, v4
	v_sub_f16_e32 v14, v182, v29
	v_pk_add_f16 v5, v13, v5
	v_add_f16_e32 v54, v54, v72
	v_sub_f16_e32 v72, v135, v75
	v_add_f16_e32 v73, v74, v73
	v_add_f16_e32 v74, v94, v163
	;; [unrolled: 1-line block ×3, first 2 shown]
	v_sub_f16_e32 v61, v184, v61
	v_add_f16_e32 v14, v14, v31
	v_sub_f16_e32 v15, v180, v32
	v_pk_add_f16 v5, v10, v5
	v_add_f16_e32 v54, v72, v54
	v_add_f16_e32 v72, v74, v73
	v_add_f16_e32 v59, v61, v59
	v_sub_f16_e32 v61, v181, v63
	v_add_f16_e32 v74, v83, v171
	v_add_f16_e32 v14, v15, v14
	v_sub_f16_e32 v15, v179, v35
	v_add_f16_e32 v32, v69, v134
	v_sub_f16_e32 v22, v130, v22
	v_pk_add_f16 v5, v11, v5
	v_add_f16_e32 v59, v61, v59
	v_add_f16_sdwa v61, v74, v4 dst_sel:DWORD dst_unused:UNUSED_PAD src0_sel:DWORD src1_sel:WORD_1
	v_add_f16_e32 v14, v15, v14
	v_add_f16_sdwa v15, v32, v4 dst_sel:DWORD dst_unused:UNUSED_PAD src0_sel:DWORD src1_sel:WORD_1
	v_add_f16_e32 v10, v70, v136
	v_add_f16_e32 v4, v22, v4
	v_sub_f16_e32 v22, v57, v26
	v_pk_add_f16 v5, v8, v5
	v_sub_f16_e32 v60, v116, v60
	v_add_f16_e32 v74, v85, v183
	v_add_f16_e32 v10, v10, v15
	;; [unrolled: 1-line block ×4, first 2 shown]
	v_sub_f16_e32 v15, v160, v30
	v_pk_add_f16 v5, v9, v5
	v_add_f16_e32 v59, v60, v59
	v_sub_f16_e32 v60, v178, v62
	v_add_f16_e32 v61, v74, v61
	v_add_f16_e32 v62, v89, v115
	;; [unrolled: 1-line block ×5, first 2 shown]
	v_sub_f16_e32 v9, v154, v34
	v_pk_add_f16 v5, v6, v5
	v_add_f16_e32 v73, v106, v140
	v_add_f16_e32 v59, v60, v59
	v_sub_f16_e32 v60, v92, v65
	v_add_f16_e32 v61, v62, v61
	v_add_f16_e32 v62, v93, v141
	v_add_f16_e32 v10, v11, v10
	v_add_f16_e32 v11, v86, v157
	v_add_f16_e32 v4, v9, v4
	v_sub_f16_e32 v6, v153, v33
	v_pk_add_f16 v5, v7, v5
	v_add_f16_e32 v72, v73, v72
	v_add_f16_e32 v73, v110, v190
	;; [unrolled: 1-line block ×3, first 2 shown]
	v_sub_f16_e32 v60, v64, v66
	v_add_f16_e32 v61, v62, v61
	v_add_f16_e32 v62, v105, v138
	v_sub_f16_e32 v26, v120, v37
	v_mul_f16_e32 v55, 0xbacd, v156
	v_add_f16_e32 v9, v11, v10
	v_add_f16_e32 v7, v90, v167
	v_add_f16_e32 v4, v6, v4
	v_sub_f16_e32 v6, v162, v36
	v_pk_add_f16 v2, v2, v5
	v_mul_f16_e32 v147, 0x3722, v156
	v_mul_f16_e32 v122, 0x2de8, v156
	v_add_f16_e32 v121, v143, v121
	v_add_f16_e32 v72, v73, v72
	;; [unrolled: 1-line block ×7, first 2 shown]
	v_sub_f16_e32 v14, v99, v42
	v_mul_f16_e32 v156, 0x3b76, v156
	v_mul_f16_e32 v143, 0xbbdd, v159
	v_add_f16_e32 v5, v7, v9
	v_add_f16_e32 v7, v97, v55
	;; [unrolled: 1-line block ×3, first 2 shown]
	v_sub_f16_e32 v6, v132, v46
	v_pk_add_f16 v2, v3, v2
	v_sub_f16_e32 v91, v98, v91
	v_mul_f16_e32 v98, 0x3b76, v159
	v_add_f16_e32 v121, v149, v121
	v_mul_f16_e32 v149, 0xbacd, v159
	v_sub_f16_e32 v63, v188, v82
	v_add_f16_e32 v72, v73, v72
	v_add_f16_e32 v73, v129, v122
	v_sub_f16_e32 v29, v176, v58
	v_add_f16_e32 v58, v61, v60
	v_add_f16_e32 v60, v109, v147
	;; [unrolled: 1-line block ×3, first 2 shown]
	v_sub_f16_e32 v10, v96, v51
	v_mul_f16_e32 v175, 0x39e9, v159
	v_mul_f16_e32 v159, 0xb8d2, v159
	v_add_f16_e32 v151, v151, v156
	v_add_f16_e32 v5, v7, v5
	;; [unrolled: 1-line block ×4, first 2 shown]
	v_pk_add_f16 v0, v0, v2
	v_sub_f16_e32 v2, v117, v50
	v_add_f16_e32 v54, v63, v54
	v_add_f16_e32 v63, v73, v72
	;; [unrolled: 1-line block ×6, first 2 shown]
	v_sub_f16_e32 v6, v150, v52
	v_add_f16_e32 v53, v91, v53
	v_add_f16_e32 v91, v151, v121
	;; [unrolled: 1-line block ×5, first 2 shown]
	v_and_b32_e32 v7, 0xffff, v43
	v_pk_add_f16 v0, v1, v0
	v_add_f16_e32 v1, v2, v4
	v_add_f16_e32 v31, v64, v63
	;; [unrolled: 1-line block ×7, first 2 shown]
	v_add_lshl_u32 v4, v28, v7, 2
	v_pk_add_f16 v0, v16, v0
	v_pack_b32_f16 v1, v1, v5
	v_pack_b32_f16 v5, v29, v31
	v_pack_b32_f16 v2, v3, v2
	v_pack_b32_f16 v3, v68, v79
	v_pack_b32_f16 v6, v54, v71
	v_pack_b32_f16 v7, v56, v114
	v_pack_b32_f16 v8, v53, v101
	ds_write2_b32 v4, v0, v1 offset1:1
	ds_write2_b32 v4, v2, v5 offset0:2 offset1:3
	ds_write2_b32 v4, v6, v3 offset0:4 offset1:5
	;; [unrolled: 1-line block ×3, first 2 shown]
	v_bfi_b32 v0, 0xffff, v27, v67
	v_bfi_b32 v1, 0xffff, v67, v27
	v_perm_b32 v2, v78, v25, 0x5040100
	v_perm_b32 v3, v80, v24, 0x5040100
	;; [unrolled: 1-line block ×7, first 2 shown]
	ds_write2_b32 v4, v1, v0 offset0:8 offset1:9
	ds_write2_b32 v4, v3, v2 offset0:10 offset1:11
	;; [unrolled: 1-line block ×4, first 2 shown]
	ds_write_b32 v4, v9 offset:64
.LBB0_7:
	s_or_b32 exec_lo, exec_lo, s0
	v_add_lshl_u32 v46, v28, v40, 2
	s_waitcnt lgkmcnt(0)
	s_barrier
	buffer_gl0_inv
	s_load_dwordx2 s[8:9], s[4:5], 0x8
	v_add_nc_u32_e32 v2, 0x400, v46
	v_add_nc_u32_e32 v3, 0x800, v46
	v_cmp_gt_u16_e64 s0, 51, v40
	ds_read2_b32 v[0:1], v46 offset1:68
	ds_read2_b32 v[6:7], v46 offset0:187 offset1:255
	ds_read2_b32 v[4:5], v2 offset0:118 offset1:186
	ds_read2_b32 v[2:3], v3 offset0:49 offset1:117
	v_lshrrev_b32_e32 v29, 16, v27
	s_and_saveexec_b32 s1, s0
	s_cbranch_execz .LBB0_9
; %bb.8:
	v_add_nc_u32_e32 v8, 0x200, v46
	v_add_nc_u32_e32 v9, 0x700, v46
	ds_read2_b32 v[26:27], v8 offset0:8 offset1:195
	ds_read2_b32 v[24:25], v9 offset0:62 offset1:249
	s_waitcnt lgkmcnt(0)
	v_lshrrev_b32_e32 v29, 16, v26
	v_lshrrev_b32_e32 v80, 16, v24
	;; [unrolled: 1-line block ×3, first 2 shown]
	v_bfi_b32 v67, 0xffff, v26, v27
.LBB0_9:
	s_or_b32 exec_lo, exec_lo, s1
	v_and_b32_e32 v8, 0xff, v40
	v_add_nc_u16 v10, v40, 0x44
	v_add_nc_u16 v11, v40, 0x88
	v_mov_b32_e32 v26, 0x44
	s_waitcnt lgkmcnt(0)
	v_lshrrev_b32_e32 v35, 16, v4
	v_mul_lo_u16 v8, 0xf1, v8
	v_lshrrev_b32_e32 v36, 16, v2
	v_and_b32_e32 v12, 0xff, v11
	v_lshrrev_b32_e32 v42, 16, v7
	v_lshrrev_b32_e32 v54, 16, v67
	v_lshrrev_b16 v22, 12, v8
	v_and_b32_e32 v8, 0xff, v10
	v_mul_lo_u16 v12, 0xf1, v12
	v_lshrrev_b32_e32 v37, 16, v1
	v_mul_lo_u16 v9, v22, 17
	v_mul_lo_u16 v8, 0xf1, v8
	v_lshrrev_b16 v50, 12, v12
	v_mul_u32_u24_sdwa v22, v22, v26 dst_sel:DWORD dst_unused:UNUSED_PAD src0_sel:WORD_0 src1_sel:DWORD
	v_sub_nc_u16 v9, v40, v9
	v_lshrrev_b16 v32, 12, v8
	v_mul_lo_u16 v13, v50, 17
	v_and_b32_e32 v33, 0xff, v9
	v_mul_lo_u16 v12, v32, 17
	v_sub_nc_u16 v11, v11, v13
	v_mul_u32_u24_sdwa v32, v32, v26 dst_sel:DWORD dst_unused:UNUSED_PAD src0_sel:WORD_0 src1_sel:DWORD
	v_mad_u64_u32 v[8:9], null, v33, 12, s[8:9]
	v_sub_nc_u16 v10, v10, v12
	v_and_b32_e32 v51, 0xff, v11
	v_add_nc_u32_e32 v22, v22, v33
	v_lshrrev_b32_e32 v33, 16, v5
	v_and_b32_e32 v34, 0xff, v10
	global_load_dwordx3 v[14:16], v[8:9], off
	v_mad_u64_u32 v[30:31], null, v51, 12, s[8:9]
	v_add_lshl_u32 v53, v28, v22, 2
	v_mad_u64_u32 v[8:9], null, v34, 12, s[8:9]
	v_add_nc_u32_e32 v32, v32, v34
	v_lshrrev_b32_e32 v34, 16, v3
	s_clause 0x1
	global_load_dwordx3 v[11:13], v[8:9], off
	global_load_dwordx3 v[8:10], v[30:31], off
	v_lshrrev_b32_e32 v31, 16, v6
	v_add_lshl_u32 v52, v28, v32, 2
	v_lshrrev_b32_e32 v30, 16, v0
	s_load_dwordx4 s[4:7], s[2:3], 0x0
	s_waitcnt vmcnt(0) lgkmcnt(0)
	s_barrier
	buffer_gl0_inv
	v_mul_f16_sdwa v22, v31, v14 dst_sel:DWORD dst_unused:UNUSED_PAD src0_sel:DWORD src1_sel:WORD_1
	v_mul_f16_sdwa v32, v6, v14 dst_sel:DWORD dst_unused:UNUSED_PAD src0_sel:DWORD src1_sel:WORD_1
	;; [unrolled: 1-line block ×6, first 2 shown]
	v_fma_f16 v6, v6, v14, -v22
	v_fmac_f16_e32 v32, v31, v14
	v_fma_f16 v4, v4, v15, -v55
	v_fmac_f16_e32 v56, v35, v15
	;; [unrolled: 2-line block ×3, first 2 shown]
	v_mul_f16_sdwa v31, v42, v11 dst_sel:DWORD dst_unused:UNUSED_PAD src0_sel:DWORD src1_sel:WORD_1
	v_mul_f16_sdwa v35, v7, v11 dst_sel:DWORD dst_unused:UNUSED_PAD src0_sel:DWORD src1_sel:WORD_1
	;; [unrolled: 1-line block ×9, first 2 shown]
	v_fma_f16 v7, v7, v11, -v31
	v_fmac_f16_e32 v35, v42, v11
	v_fma_f16 v5, v5, v12, -v36
	v_fmac_f16_e32 v55, v33, v12
	;; [unrolled: 2-line block ×3, first 2 shown]
	v_fma_f16 v3, v27, v8, -v60
	v_sub_f16_e32 v27, v0, v4
	v_sub_f16_e32 v33, v30, v56
	;; [unrolled: 1-line block ×4, first 2 shown]
	v_mul_f16_sdwa v61, v80, v9 dst_sel:DWORD dst_unused:UNUSED_PAD src0_sel:DWORD src1_sel:WORD_1
	v_mul_f16_sdwa v64, v25, v10 dst_sel:DWORD dst_unused:UNUSED_PAD src0_sel:DWORD src1_sel:WORD_1
	v_fmac_f16_e32 v2, v54, v8
	v_fma_f16 v25, v25, v10, -v63
	v_fma_f16 v30, v30, 2.0, -v33
	v_fma_f16 v32, v32, 2.0, -v22
	v_sub_f16_e32 v42, v27, v22
	v_add_f16_e32 v54, v33, v4
	v_sub_f16_e32 v56, v1, v5
	v_sub_f16_e32 v55, v37, v55
	;; [unrolled: 1-line block ×4, first 2 shown]
	v_mul_f16_sdwa v62, v24, v9 dst_sel:DWORD dst_unused:UNUSED_PAD src0_sel:DWORD src1_sel:WORD_1
	v_fma_f16 v24, v24, v9, -v61
	v_fma_f16 v34, v0, 2.0, -v27
	v_fma_f16 v36, v6, 2.0, -v4
	v_sub_f16_e32 v6, v3, v25
	v_sub_f16_e32 v25, v30, v32
	v_fma_f16 v32, v33, 2.0, -v54
	v_fma_f16 v1, v1, 2.0, -v56
	;; [unrolled: 1-line block ×5, first 2 shown]
	v_fmac_f16_e32 v62, v80, v9
	v_fmac_f16_e32 v64, v78, v10
	v_sub_f16_e32 v0, v67, v24
	v_sub_f16_e32 v24, v34, v36
	;; [unrolled: 1-line block ×3, first 2 shown]
	v_add_f16_e32 v36, v55, v22
	v_fma_f16 v27, v27, 2.0, -v42
	v_sub_f16_e32 v7, v1, v7
	v_sub_f16_e32 v35, v33, v35
	;; [unrolled: 1-line block ×4, first 2 shown]
	v_pack_b32_f16 v37, v42, v54
	v_fma_f16 v42, v56, 2.0, -v31
	v_fma_f16 v54, v55, 2.0, -v36
	;; [unrolled: 1-line block ×4, first 2 shown]
	v_pack_b32_f16 v27, v27, v32
	v_fma_f16 v1, v1, 2.0, -v7
	v_fma_f16 v32, v33, 2.0, -v35
	v_sub_f16_e32 v22, v0, v5
	v_pack_b32_f16 v24, v24, v25
	v_pack_b32_f16 v25, v31, v36
	;; [unrolled: 1-line block ×3, first 2 shown]
	v_add_f16_e32 v54, v4, v6
	v_pack_b32_f16 v30, v34, v30
	v_pack_b32_f16 v1, v1, v32
	;; [unrolled: 1-line block ×3, first 2 shown]
	ds_write2_b32 v53, v24, v37 offset0:34 offset1:51
	ds_write2_b32 v53, v30, v27 offset1:17
	ds_write2_b32 v52, v1, v31 offset1:17
	ds_write2_b32 v52, v7, v25 offset0:34 offset1:51
	s_and_saveexec_b32 s1, s0
	s_cbranch_execz .LBB0_11
; %bb.10:
	v_fma_f16 v1, v67, 2.0, -v0
	v_fma_f16 v3, v3, 2.0, -v6
	;; [unrolled: 1-line block ×4, first 2 shown]
	v_mul_u32_u24_sdwa v5, v50, v26 dst_sel:DWORD dst_unused:UNUSED_PAD src0_sel:WORD_0 src1_sel:DWORD
	v_fma_f16 v0, v0, 2.0, -v22
	v_sub_f16_e32 v3, v1, v3
	v_fma_f16 v4, v4, 2.0, -v54
	v_sub_f16_e32 v2, v6, v2
	v_add_nc_u32_e32 v5, v5, v51
	v_perm_b32 v7, v54, v22, 0x5040100
	v_fma_f16 v1, v1, 2.0, -v3
	v_pack_b32_f16 v0, v0, v4
	v_fma_f16 v6, v6, 2.0, -v2
	v_add_lshl_u32 v4, v28, v5, 2
	v_pack_b32_f16 v2, v3, v2
	v_pack_b32_f16 v1, v1, v6
	ds_write2_b32 v4, v1, v0 offset1:17
	ds_write2_b32 v4, v2, v7 offset0:34 offset1:51
.LBB0_11:
	s_or_b32 exec_lo, exec_lo, s1
	v_mad_u64_u32 v[24:25], null, v40, 40, s[8:9]
	s_waitcnt lgkmcnt(0)
	s_barrier
	buffer_gl0_inv
	v_add_nc_u32_e32 v32, 0x400, v46
	v_add_nc_u32_e32 v34, 0x800, v46
	v_lshl_add_u32 v42, v40, 2, v41
	s_clause 0x2
	global_load_dwordx4 v[4:7], v[24:25], off offset:204
	global_load_dwordx4 v[0:3], v[24:25], off offset:220
	global_load_dwordx2 v[24:25], v[24:25], off offset:236
	ds_read2_b32 v[26:27], v46 offset1:68
	ds_read2_b32 v[28:29], v46 offset0:136 offset1:204
	ds_read_b32 v55, v46 offset:2720
	ds_read2_b32 v[30:31], v32 offset0:16 offset1:84
	ds_read2_b32 v[32:33], v32 offset0:152 offset1:220
	;; [unrolled: 1-line block ×3, first 2 shown]
	v_add_nc_u32_e32 v36, 0x200, v42
	v_add_nc_u32_e32 v37, 0x400, v42
	v_add_nc_u32_e32 v67, 0x600, v42
	v_add_nc_u32_e32 v68, 0x800, v42
	s_waitcnt lgkmcnt(3)
	v_lshrrev_b32_e32 v59, 16, v55
	v_lshrrev_b32_e32 v56, 16, v27
	v_lshrrev_b32_e32 v57, 16, v28
	s_waitcnt lgkmcnt(0)
	v_lshrrev_b32_e32 v65, 16, v35
	v_lshrrev_b32_e32 v58, 16, v29
	;; [unrolled: 1-line block ×7, first 2 shown]
	s_waitcnt vmcnt(2)
	v_mul_f16_sdwa v66, v56, v4 dst_sel:DWORD dst_unused:UNUSED_PAD src0_sel:DWORD src1_sel:WORD_1
	v_mul_f16_sdwa v69, v27, v4 dst_sel:DWORD dst_unused:UNUSED_PAD src0_sel:DWORD src1_sel:WORD_1
	;; [unrolled: 1-line block ×4, first 2 shown]
	s_waitcnt vmcnt(0)
	v_mul_f16_sdwa v84, v65, v24 dst_sel:DWORD dst_unused:UNUSED_PAD src0_sel:DWORD src1_sel:WORD_1
	v_mul_f16_sdwa v86, v59, v25 dst_sel:DWORD dst_unused:UNUSED_PAD src0_sel:DWORD src1_sel:WORD_1
	;; [unrolled: 1-line block ×3, first 2 shown]
	v_fma_f16 v27, v27, v4, -v66
	v_fmac_f16_e32 v69, v56, v4
	v_mul_f16_sdwa v72, v58, v6 dst_sel:DWORD dst_unused:UNUSED_PAD src0_sel:DWORD src1_sel:WORD_1
	v_mul_f16_sdwa v73, v29, v6 dst_sel:DWORD dst_unused:UNUSED_PAD src0_sel:DWORD src1_sel:WORD_1
	;; [unrolled: 1-line block ×13, first 2 shown]
	v_fma_f16 v28, v28, v5, -v70
	v_fmac_f16_e32 v71, v57, v5
	v_fma_f16 v56, v35, v24, -v84
	v_fma_f16 v55, v55, v25, -v86
	v_fmac_f16_e32 v87, v59, v25
	v_add_f16_e32 v35, v26, v27
	v_add_f16_sdwa v57, v26, v69 dst_sel:DWORD dst_unused:UNUSED_PAD src0_sel:WORD_1 src1_sel:DWORD
	v_fma_f16 v29, v29, v6, -v72
	v_fmac_f16_e32 v73, v58, v6
	v_fma_f16 v30, v30, v7, -v74
	v_fmac_f16_e32 v75, v60, v7
	;; [unrolled: 2-line block ×6, first 2 shown]
	v_fmac_f16_e32 v85, v65, v24
	v_add_f16_e32 v58, v27, v55
	v_sub_f16_e32 v27, v27, v55
	v_sub_f16_e32 v60, v69, v87
	v_add_f16_e32 v61, v28, v56
	v_sub_f16_e32 v63, v28, v56
	v_add_f16_e32 v28, v35, v28
	v_add_f16_e32 v35, v57, v71
	;; [unrolled: 1-line block ×4, first 2 shown]
	v_sub_f16_e32 v64, v71, v85
	v_add_f16_e32 v65, v29, v34
	v_sub_f16_e32 v69, v29, v34
	v_sub_f16_e32 v70, v73, v83
	;; [unrolled: 1-line block ×6, first 2 shown]
	v_mul_f16_e32 v57, 0xb853, v60
	v_mul_f16_e32 v71, 0xb853, v27
	;; [unrolled: 1-line block ×10, first 2 shown]
	v_add_f16_e32 v28, v28, v29
	v_add_f16_e32 v29, v35, v73
	;; [unrolled: 1-line block ×7, first 2 shown]
	v_mul_f16_e32 v94, 0xbb47, v64
	v_mul_f16_e32 v95, 0xbb47, v63
	v_mul_f16_e32 v96, 0xba0c, v64
	v_mul_f16_e32 v97, 0xba0c, v63
	v_mul_f16_e32 v98, 0x3482, v64
	v_mul_f16_e32 v99, 0x3482, v63
	v_mul_f16_e32 v100, 0x3beb, v64
	v_mul_f16_e32 v101, 0x3beb, v63
	v_mul_f16_e32 v64, 0x3853, v64
	v_mul_f16_e32 v63, 0x3853, v63
	v_mul_f16_e32 v102, 0xbbeb, v70
	v_mul_f16_e32 v103, 0xbbeb, v69
	v_mul_f16_e32 v104, 0x3482, v70
	v_mul_f16_e32 v105, 0x3482, v69
	v_mul_f16_e32 v106, 0x3b47, v70
	v_mul_f16_e32 v107, 0x3b47, v69
	v_mul_f16_e32 v108, 0xb853, v70
	v_mul_f16_e32 v109, 0xb853, v69
	v_mul_f16_e32 v70, 0xba0c, v70
	v_mul_f16_e32 v69, 0xba0c, v69
	v_mul_f16_e32 v110, 0xba0c, v78
	v_mul_f16_e32 v111, 0xba0c, v76
	v_mul_f16_e32 v112, 0x3beb, v78
	v_mul_f16_e32 v113, 0x3beb, v76
	v_mul_f16_e32 v114, 0xb853, v78
	v_mul_f16_e32 v115, 0xb853, v76
	v_mul_f16_e32 v116, 0xb482, v78
	v_mul_f16_e32 v117, 0xb482, v76
	v_mul_f16_e32 v78, 0x3b47, v78
	v_mul_f16_e32 v76, 0x3b47, v76
	v_mul_f16_e32 v118, 0xb482, v86
	v_mul_f16_e32 v119, 0xb482, v84
	v_mul_f16_e32 v120, 0x3853, v86
	v_mul_f16_e32 v121, 0x3853, v84
	v_mul_f16_e32 v122, 0xba0c, v86
	v_mul_f16_e32 v123, 0xba0c, v84
	v_mul_f16_e32 v124, 0x3b47, v86
	v_mul_f16_e32 v125, 0x3b47, v84
	v_mul_f16_e32 v86, 0xbbeb, v86
	v_mul_f16_e32 v84, 0xbbeb, v84
	v_fma_f16 v35, v58, 0x3abb, -v57
	v_fmamk_f16 v73, v59, 0x3abb, v71
	v_fmac_f16_e32 v57, 0x3abb, v58
	v_fma_f16 v71, v59, 0x3abb, -v71
	v_fma_f16 v126, v58, 0x36a6, -v88
	v_fmamk_f16 v127, v59, 0x36a6, v89
	v_fmac_f16_e32 v88, 0x36a6, v58
	v_fma_f16 v89, v59, 0x36a6, -v89
	;; [unrolled: 4-line block ×5, first 2 shown]
	v_add_f16_e32 v28, v28, v30
	v_add_f16_e32 v29, v29, v75
	v_fma_f16 v58, v61, 0x36a6, -v94
	v_fmamk_f16 v59, v62, 0x36a6, v95
	v_fmac_f16_e32 v94, 0x36a6, v61
	v_fma_f16 v95, v62, 0x36a6, -v95
	v_fma_f16 v134, v61, 0xb93d, -v96
	v_fmamk_f16 v135, v62, 0xb93d, v97
	v_fmac_f16_e32 v96, 0xb93d, v61
	v_fma_f16 v97, v62, 0xb93d, -v97
	;; [unrolled: 4-line block ×20, first 2 shown]
	v_add_f16_e32 v30, v26, v35
	v_add_f16_sdwa v35, v26, v73 dst_sel:DWORD dst_unused:UNUSED_PAD src0_sel:WORD_1 src1_sel:DWORD
	v_add_f16_e32 v57, v26, v57
	v_add_f16_sdwa v71, v26, v71 dst_sel:DWORD dst_unused:UNUSED_PAD src0_sel:WORD_1 src1_sel:DWORD
	;; [unrolled: 2-line block ×10, first 2 shown]
	v_add_f16_e32 v27, v28, v31
	v_add_f16_e32 v28, v29, v77
	;; [unrolled: 1-line block ×92, first 2 shown]
	v_pack_b32_f16 v75, v55, v56
	v_pack_b32_f16 v70, v28, v66
	v_pack_b32_f16 v71, v29, v65
	v_pack_b32_f16 v69, v34, v64
	v_pack_b32_f16 v72, v35, v63
	v_pack_b32_f16 v73, v30, v62
	v_pack_b32_f16 v74, v31, v61
	v_pack_b32_f16 v76, v32, v60
	v_pack_b32_f16 v77, v33, v59
	v_pack_b32_f16 v78, v26, v58
	v_pack_b32_f16 v79, v27, v57
	ds_write_b32 v42, v75
	ds_write2_b32 v42, v70, v71 offset0:68 offset1:136
	ds_write2_b32 v36, v69, v72 offset0:76 offset1:144
	;; [unrolled: 1-line block ×5, first 2 shown]
	s_waitcnt lgkmcnt(0)
	s_barrier
	buffer_gl0_inv
	s_and_saveexec_b32 s8, vcc_lo
	s_cbranch_execz .LBB0_13
; %bb.12:
	s_add_u32 s2, s12, 0xbb0
	s_addc_u32 s3, s13, 0
	v_add_co_u32 v69, s1, s2, v39
	s_clause 0x5
	global_load_dword v71, v39, s[2:3]
	global_load_dword v85, v39, s[2:3] offset:176
	global_load_dword v86, v39, s[2:3] offset:352
	;; [unrolled: 1-line block ×5, first 2 shown]
	v_add_co_ci_u32_e64 v70, null, s3, 0, s1
	v_add_co_u32 v69, s1, 0x800, v69
	v_or_b32_e32 v72, 0xb00, v39
	v_add_co_ci_u32_e64 v70, s1, 0, v70, s1
	s_clause 0xa
	global_load_dword v90, v39, s[2:3] offset:1056
	global_load_dword v91, v39, s[2:3] offset:1232
	;; [unrolled: 1-line block ×6, first 2 shown]
	global_load_dword v96, v[69:70], off offset:64
	global_load_dword v97, v[69:70], off offset:240
	global_load_dword v98, v[69:70], off offset:416
	global_load_dword v99, v[69:70], off offset:592
	global_load_dword v100, v72, s[2:3]
	ds_read_b32 v69, v42
	s_waitcnt lgkmcnt(0)
	v_lshrrev_b32_e32 v70, 16, v69
	s_waitcnt vmcnt(16)
	v_mul_f16_sdwa v72, v70, v71 dst_sel:DWORD dst_unused:UNUSED_PAD src0_sel:DWORD src1_sel:WORD_1
	v_mul_f16_sdwa v73, v69, v71 dst_sel:DWORD dst_unused:UNUSED_PAD src0_sel:DWORD src1_sel:WORD_1
	v_fma_f16 v69, v69, v71, -v72
	v_fmac_f16_e32 v73, v70, v71
	v_pack_b32_f16 v69, v69, v73
	ds_write_b32 v42, v69
	ds_read2_b32 v[69:70], v42 offset0:44 offset1:88
	ds_read2_b32 v[71:72], v42 offset0:132 offset1:176
	;; [unrolled: 1-line block ×8, first 2 shown]
	s_waitcnt lgkmcnt(7)
	v_lshrrev_b32_e32 v101, 16, v69
	s_waitcnt vmcnt(15)
	v_mul_f16_sdwa v102, v69, v85 dst_sel:DWORD dst_unused:UNUSED_PAD src0_sel:DWORD src1_sel:WORD_1
	v_lshrrev_b32_e32 v103, 16, v70
	s_waitcnt vmcnt(14)
	v_mul_f16_sdwa v104, v70, v86 dst_sel:DWORD dst_unused:UNUSED_PAD src0_sel:DWORD src1_sel:WORD_1
	s_waitcnt lgkmcnt(6)
	v_lshrrev_b32_e32 v105, 16, v71
	s_waitcnt vmcnt(13)
	v_mul_f16_sdwa v106, v71, v87 dst_sel:DWORD dst_unused:UNUSED_PAD src0_sel:DWORD src1_sel:WORD_1
	v_lshrrev_b32_e32 v107, 16, v72
	s_waitcnt vmcnt(12)
	v_mul_f16_sdwa v108, v72, v88 dst_sel:DWORD dst_unused:UNUSED_PAD src0_sel:DWORD src1_sel:WORD_1
	s_waitcnt lgkmcnt(5)
	v_lshrrev_b32_e32 v109, 16, v73
	s_waitcnt vmcnt(11)
	v_mul_f16_sdwa v110, v73, v89 dst_sel:DWORD dst_unused:UNUSED_PAD src0_sel:DWORD src1_sel:WORD_1
	v_lshrrev_b32_e32 v111, 16, v74
	s_waitcnt vmcnt(10)
	v_mul_f16_sdwa v112, v74, v90 dst_sel:DWORD dst_unused:UNUSED_PAD src0_sel:DWORD src1_sel:WORD_1
	s_waitcnt lgkmcnt(4)
	v_lshrrev_b32_e32 v113, 16, v75
	s_waitcnt vmcnt(9)
	v_mul_f16_sdwa v114, v75, v91 dst_sel:DWORD dst_unused:UNUSED_PAD src0_sel:DWORD src1_sel:WORD_1
	v_lshrrev_b32_e32 v115, 16, v76
	s_waitcnt vmcnt(8)
	v_mul_f16_sdwa v116, v76, v92 dst_sel:DWORD dst_unused:UNUSED_PAD src0_sel:DWORD src1_sel:WORD_1
	s_waitcnt lgkmcnt(3)
	v_lshrrev_b32_e32 v117, 16, v77
	s_waitcnt vmcnt(7)
	v_mul_f16_sdwa v118, v77, v93 dst_sel:DWORD dst_unused:UNUSED_PAD src0_sel:DWORD src1_sel:WORD_1
	v_lshrrev_b32_e32 v119, 16, v78
	s_waitcnt vmcnt(6)
	v_mul_f16_sdwa v120, v78, v94 dst_sel:DWORD dst_unused:UNUSED_PAD src0_sel:DWORD src1_sel:WORD_1
	s_waitcnt lgkmcnt(2)
	v_lshrrev_b32_e32 v121, 16, v79
	s_waitcnt vmcnt(5)
	v_mul_f16_sdwa v122, v79, v95 dst_sel:DWORD dst_unused:UNUSED_PAD src0_sel:DWORD src1_sel:WORD_1
	v_lshrrev_b32_e32 v123, 16, v80
	s_waitcnt vmcnt(4)
	v_mul_f16_sdwa v124, v80, v96 dst_sel:DWORD dst_unused:UNUSED_PAD src0_sel:DWORD src1_sel:WORD_1
	s_waitcnt lgkmcnt(1)
	v_lshrrev_b32_e32 v125, 16, v81
	s_waitcnt vmcnt(3)
	v_mul_f16_sdwa v126, v81, v97 dst_sel:DWORD dst_unused:UNUSED_PAD src0_sel:DWORD src1_sel:WORD_1
	v_lshrrev_b32_e32 v127, 16, v82
	s_waitcnt vmcnt(2)
	v_mul_f16_sdwa v128, v82, v98 dst_sel:DWORD dst_unused:UNUSED_PAD src0_sel:DWORD src1_sel:WORD_1
	s_waitcnt lgkmcnt(0)
	v_lshrrev_b32_e32 v129, 16, v83
	s_waitcnt vmcnt(1)
	v_mul_f16_sdwa v130, v83, v99 dst_sel:DWORD dst_unused:UNUSED_PAD src0_sel:DWORD src1_sel:WORD_1
	v_lshrrev_b32_e32 v131, 16, v84
	v_mul_f16_sdwa v133, v101, v85 dst_sel:DWORD dst_unused:UNUSED_PAD src0_sel:DWORD src1_sel:WORD_1
	v_fmac_f16_e32 v102, v101, v85
	v_mul_f16_sdwa v101, v103, v86 dst_sel:DWORD dst_unused:UNUSED_PAD src0_sel:DWORD src1_sel:WORD_1
	v_fmac_f16_e32 v104, v103, v86
	;; [unrolled: 2-line block ×9, first 2 shown]
	v_mul_f16_sdwa v117, v119, v94 dst_sel:DWORD dst_unused:UNUSED_PAD src0_sel:DWORD src1_sel:WORD_1
	s_waitcnt vmcnt(0)
	v_mul_f16_sdwa v132, v84, v100 dst_sel:DWORD dst_unused:UNUSED_PAD src0_sel:DWORD src1_sel:WORD_1
	v_fmac_f16_e32 v120, v119, v94
	v_mul_f16_sdwa v119, v121, v95 dst_sel:DWORD dst_unused:UNUSED_PAD src0_sel:DWORD src1_sel:WORD_1
	v_fmac_f16_e32 v122, v121, v95
	v_mul_f16_sdwa v121, v123, v96 dst_sel:DWORD dst_unused:UNUSED_PAD src0_sel:DWORD src1_sel:WORD_1
	v_fmac_f16_e32 v124, v123, v96
	v_mul_f16_sdwa v123, v125, v97 dst_sel:DWORD dst_unused:UNUSED_PAD src0_sel:DWORD src1_sel:WORD_1
	v_fmac_f16_e32 v126, v125, v97
	v_mul_f16_sdwa v125, v127, v98 dst_sel:DWORD dst_unused:UNUSED_PAD src0_sel:DWORD src1_sel:WORD_1
	v_fmac_f16_e32 v128, v127, v98
	v_mul_f16_sdwa v127, v129, v99 dst_sel:DWORD dst_unused:UNUSED_PAD src0_sel:DWORD src1_sel:WORD_1
	v_fmac_f16_e32 v130, v129, v99
	v_mul_f16_sdwa v129, v131, v100 dst_sel:DWORD dst_unused:UNUSED_PAD src0_sel:DWORD src1_sel:WORD_1
	v_fma_f16 v69, v69, v85, -v133
	v_fma_f16 v70, v70, v86, -v101
	;; [unrolled: 1-line block ×10, first 2 shown]
	v_fmac_f16_e32 v132, v131, v100
	v_fma_f16 v79, v79, v95, -v119
	v_fma_f16 v80, v80, v96, -v121
	;; [unrolled: 1-line block ×6, first 2 shown]
	v_pack_b32_f16 v69, v69, v102
	v_pack_b32_f16 v70, v70, v104
	;; [unrolled: 1-line block ×16, first 2 shown]
	ds_write2_b32 v42, v69, v70 offset0:44 offset1:88
	ds_write2_b32 v42, v71, v72 offset0:132 offset1:176
	;; [unrolled: 1-line block ×8, first 2 shown]
.LBB0_13:
	s_or_b32 exec_lo, exec_lo, s8
	s_waitcnt lgkmcnt(0)
	s_barrier
	buffer_gl0_inv
	s_and_saveexec_b32 s1, vcc_lo
	s_cbranch_execz .LBB0_15
; %bb.14:
	v_add_nc_u32_e32 v18, 0x200, v42
	v_add_nc_u32_e32 v19, 0x400, v42
	ds_read_b32 v55, v42
	ds_read2_b32 v[28:29], v42 offset0:44 offset1:88
	ds_read2_b32 v[34:35], v42 offset0:132 offset1:176
	ds_read2_b32 v[30:31], v18 offset0:92 offset1:136
	v_add_nc_u32_e32 v18, 0x600, v42
	v_add_nc_u32_e32 v36, 0x800, v42
	ds_read2_b32 v[32:33], v19 offset0:52 offset1:96
	ds_read2_b32 v[26:27], v19 offset0:140 offset1:184
	;; [unrolled: 1-line block ×5, first 2 shown]
	s_waitcnt lgkmcnt(8)
	v_lshrrev_b32_e32 v56, 16, v55
	s_waitcnt lgkmcnt(7)
	v_lshrrev_b32_e32 v66, 16, v28
	v_lshrrev_b32_e32 v65, 16, v29
	s_waitcnt lgkmcnt(6)
	v_lshrrev_b32_e32 v64, 16, v34
	v_lshrrev_b32_e32 v63, 16, v35
	s_waitcnt lgkmcnt(5)
	v_lshrrev_b32_e32 v62, 16, v30
	v_lshrrev_b32_e32 v61, 16, v31
	s_waitcnt lgkmcnt(4)
	v_lshrrev_b32_e32 v60, 16, v32
	v_lshrrev_b32_e32 v59, 16, v33
	s_waitcnt lgkmcnt(3)
	v_lshrrev_b32_e32 v58, 16, v26
	v_lshrrev_b32_e32 v57, 16, v27
	s_waitcnt lgkmcnt(2)
	v_lshrrev_b32_e32 v54, 16, v22
	v_lshrrev_b32_e32 v49, 16, v23
	s_waitcnt lgkmcnt(1)
	v_lshrrev_b32_e32 v48, 16, v20
	v_lshrrev_b32_e32 v47, 16, v21
	s_waitcnt lgkmcnt(0)
	v_lshrrev_b32_e32 v45, 16, v18
	v_lshrrev_b32_e32 v44, 16, v19
.LBB0_15:
	s_or_b32 exec_lo, exec_lo, s1
	v_add_f16_e32 v93, v44, v66
	v_sub_f16_e32 v89, v66, v44
	v_sub_f16_e32 v68, v28, v19
	v_add_f16_e32 v67, v19, v28
	v_sub_f16_e32 v90, v65, v45
	v_mul_f16_e32 v92, 0xb8d2, v93
	v_mul_f16_e32 v95, 0xba62, v89
	v_add_f16_e32 v96, v45, v65
	v_mul_f16_e32 v105, 0xb836, v89
	v_mul_f16_e32 v111, 0xbacd, v93
	v_fmamk_f16 v70, v68, 0xba62, v92
	v_fma_f16 v69, v67, 0xb8d2, -v95
	v_mul_f16_e32 v98, 0x3bb2, v90
	v_sub_f16_e32 v76, v29, v18
	v_mul_f16_e32 v109, 0xb461, v96
	v_add_f16_e32 v75, v56, v70
	v_add_f16_e32 v70, v18, v29
	v_mul_f16_e32 v36, 0xb1e1, v89
	v_mul_f16_e32 v37, 0xbbdd, v93
	v_fma_f16 v71, v67, 0xbacd, -v105
	v_fmamk_f16 v72, v68, 0xb836, v111
	v_add_f16_e32 v69, v55, v69
	v_fma_f16 v77, v70, 0xb461, -v98
	v_mul_f16_e32 v113, 0x3b29, v90
	v_fmamk_f16 v78, v76, 0x3bb2, v109
	v_mul_f16_e32 v115, 0x3722, v96
	v_fmamk_f16 v73, v67, 0xbbdd, v36
	v_fmamk_f16 v74, v68, 0x31e1, v37
	v_add_f16_e32 v71, v55, v71
	v_add_f16_e32 v72, v56, v72
	v_mul_f16_e32 v79, 0x35c8, v90
	v_add_f16_e32 v69, v77, v69
	v_fma_f16 v77, v70, 0x3722, -v113
	v_add_f16_e32 v75, v78, v75
	v_fmamk_f16 v78, v76, 0x3b29, v115
	v_mul_f16_e32 v81, 0x3b76, v96
	v_sub_f16_e32 v91, v64, v47
	v_add_f16_e32 v73, v55, v73
	v_add_f16_e32 v74, v56, v74
	v_fmac_f16_e32 v37, 0xb1e1, v68
	v_fmamk_f16 v80, v70, 0x3b76, v79
	v_add_f16_e32 v71, v77, v71
	v_add_f16_e32 v72, v78, v72
	v_fmamk_f16 v78, v76, 0xb5c8, v81
	v_add_f16_e32 v77, v21, v34
	v_mul_f16_e32 v101, 0xb5c8, v91
	v_add_f16_e32 v99, v47, v64
	v_fma_f16 v36, v67, 0xbbdd, -v36
	v_add_f16_e32 v37, v56, v37
	v_add_f16_e32 v73, v80, v73
	v_fmac_f16_e32 v81, 0x35c8, v76
	v_add_f16_e32 v74, v78, v74
	v_fma_f16 v80, v77, 0x3b76, -v101
	v_sub_f16_e32 v78, v34, v21
	v_mul_f16_e32 v114, 0x3b76, v99
	v_add_f16_e32 v36, v55, v36
	v_fma_f16 v79, v70, 0x3b76, -v79
	v_add_f16_e32 v37, v81, v37
	v_add_f16_e32 v69, v80, v69
	v_mul_f16_e32 v117, 0xbbf7, v91
	v_fmamk_f16 v80, v78, 0xb5c8, v114
	v_mul_f16_e32 v81, 0xbacd, v99
	v_add_f16_e32 v36, v79, v36
	v_mul_f16_e32 v79, 0xb836, v91
	v_fma_f16 v82, v77, 0x2de8, -v117
	v_add_f16_e32 v75, v80, v75
	v_fmamk_f16 v80, v78, 0x3836, v81
	v_sub_f16_e32 v94, v63, v48
	v_add_f16_e32 v102, v48, v63
	v_mul_f16_e32 v119, 0x2de8, v99
	v_fmamk_f16 v84, v77, 0xbacd, v79
	v_add_f16_e32 v71, v82, v71
	v_add_f16_e32 v74, v80, v74
	v_fma_f16 v82, v77, 0xbacd, -v79
	v_add_f16_e32 v79, v20, v35
	v_mul_f16_e32 v112, 0xb836, v94
	v_fmac_f16_e32 v81, 0xb836, v78
	v_sub_f16_e32 v80, v35, v20
	v_mul_f16_e32 v118, 0xbacd, v102
	v_fmamk_f16 v83, v78, 0xbbf7, v119
	v_add_f16_e32 v36, v82, v36
	v_fma_f16 v82, v79, 0xbacd, -v112
	v_add_f16_e32 v37, v81, v37
	v_mul_f16_e32 v120, 0x3a62, v94
	v_fmamk_f16 v81, v80, 0xb836, v118
	v_mul_f16_e32 v123, 0xb8d2, v102
	v_add_f16_e32 v72, v83, v72
	v_add_f16_e32 v73, v84, v73
	v_add_f16_e32 v69, v82, v69
	v_mul_f16_e32 v82, 0x3964, v94
	v_fma_f16 v83, v79, 0xb8d2, -v120
	v_add_f16_e32 v75, v81, v75
	v_fmamk_f16 v81, v80, 0x3a62, v123
	v_mul_f16_e32 v84, 0x39e9, v102
	v_sub_f16_e32 v97, v62, v49
	v_fmamk_f16 v85, v79, 0x39e9, v82
	v_add_f16_e32 v71, v83, v71
	v_add_f16_e32 v72, v81, v72
	v_fmamk_f16 v83, v80, 0xb964, v84
	v_add_f16_e32 v81, v23, v30
	v_mul_f16_e32 v116, 0x3bf7, v97
	v_fma_f16 v82, v79, 0x39e9, -v82
	v_add_f16_e32 v107, v49, v62
	v_add_f16_e32 v74, v83, v74
	v_fmac_f16_e32 v84, 0x3964, v80
	v_fma_f16 v83, v81, 0x2de8, -v116
	v_add_f16_e32 v36, v82, v36
	v_sub_f16_e32 v82, v30, v23
	v_mul_f16_e32 v122, 0x2de8, v107
	v_add_f16_e32 v37, v84, v37
	v_add_f16_e32 v69, v83, v69
	v_mul_f16_e32 v125, 0xb5c8, v97
	v_mul_f16_e32 v84, 0xba62, v97
	v_fmamk_f16 v83, v82, 0x3bf7, v122
	v_add_f16_e32 v73, v85, v73
	v_mul_f16_e32 v128, 0x3b76, v107
	v_mul_f16_e32 v85, 0xb8d2, v107
	v_fma_f16 v86, v81, 0x3b76, -v125
	v_add_f16_e32 v75, v83, v75
	v_fmamk_f16 v83, v81, 0xb8d2, v84
	v_sub_f16_e32 v100, v61, v54
	v_add_f16_e32 v104, v54, v61
	v_fmamk_f16 v87, v82, 0xb5c8, v128
	v_fmamk_f16 v88, v82, 0x3a62, v85
	v_add_f16_e32 v71, v86, v71
	v_add_f16_e32 v73, v83, v73
	;; [unrolled: 1-line block ×3, first 2 shown]
	v_mul_f16_e32 v121, 0xb964, v100
	v_fma_f16 v86, v81, 0xb8d2, -v84
	v_fmac_f16_e32 v85, 0xba62, v82
	v_sub_f16_e32 v84, v31, v22
	v_mul_f16_e32 v126, 0x39e9, v104
	v_add_f16_e32 v72, v87, v72
	v_fma_f16 v87, v83, 0x39e9, -v121
	v_add_f16_e32 v37, v85, v37
	v_mul_f16_e32 v130, 0xb1e1, v100
	v_fmamk_f16 v85, v84, 0xb964, v126
	v_mul_f16_e32 v131, 0xbbdd, v104
	v_add_f16_e32 v74, v88, v74
	v_add_f16_e32 v36, v86, v36
	;; [unrolled: 1-line block ×3, first 2 shown]
	v_mul_f16_e32 v86, 0x3b29, v100
	v_fma_f16 v87, v83, 0xbbdd, -v130
	v_add_f16_e32 v75, v85, v75
	v_mul_f16_e32 v88, 0x3722, v104
	v_fmamk_f16 v85, v84, 0xb1e1, v131
	v_sub_f16_e32 v103, v60, v57
	v_fmamk_f16 v106, v83, 0x3722, v86
	v_add_f16_e32 v71, v87, v71
	v_fmamk_f16 v87, v84, 0xbb29, v88
	v_add_f16_e32 v72, v85, v72
	v_add_f16_e32 v85, v27, v32
	v_mul_f16_e32 v124, 0xb1e1, v103
	v_add_f16_e32 v108, v57, v60
	v_add_f16_e32 v73, v106, v73
	v_add_f16_e32 v74, v87, v74
	v_fma_f16 v87, v83, 0x3722, -v86
	v_fmac_f16_e32 v88, 0x3b29, v84
	v_fma_f16 v106, v85, 0xbbdd, -v124
	v_sub_f16_e32 v86, v32, v27
	v_mul_f16_e32 v129, 0xbbdd, v108
	v_mul_f16_e32 v133, 0x3964, v103
	v_add_f16_e32 v36, v87, v36
	v_add_f16_e32 v37, v88, v37
	;; [unrolled: 1-line block ×3, first 2 shown]
	v_fmamk_f16 v87, v86, 0xb1e1, v129
	v_mul_f16_e32 v134, 0x39e9, v108
	v_mul_f16_e32 v88, 0xbbb2, v103
	;; [unrolled: 1-line block ×3, first 2 shown]
	v_fma_f16 v106, v85, 0x39e9, -v133
	v_add_f16_e32 v75, v87, v75
	v_fmamk_f16 v87, v86, 0x3964, v134
	v_fmamk_f16 v110, v85, 0xb461, v88
	;; [unrolled: 1-line block ×3, first 2 shown]
	v_add_f16_e32 v71, v106, v71
	v_sub_f16_e32 v106, v59, v58
	v_add_f16_e32 v72, v87, v72
	v_add_f16_e32 v137, v110, v73
	;; [unrolled: 1-line block ×4, first 2 shown]
	v_mul_f16_e32 v127, 0x3b29, v106
	v_add_f16_e32 v110, v58, v59
	v_fma_f16 v73, v85, 0xb461, -v88
	v_fmac_f16_e32 v136, 0xbbb2, v86
	v_sub_f16_e32 v88, v33, v26
	v_fma_f16 v74, v87, 0x3722, -v127
	v_mul_f16_e32 v132, 0x3722, v110
	v_mul_f16_e32 v135, 0xbbb2, v106
	v_add_f16_e32 v139, v136, v37
	v_mul_f16_e32 v136, 0xb461, v110
	v_add_f16_e32 v69, v74, v69
	v_fmamk_f16 v37, v88, 0x3b29, v132
	v_fma_f16 v74, v87, 0xb461, -v135
	v_mul_f16_e32 v140, 0x3bf7, v106
	v_mul_f16_e32 v141, 0x2de8, v110
	v_add_f16_e32 v36, v73, v36
	v_add_f16_e32 v73, v37, v75
	;; [unrolled: 1-line block ×3, first 2 shown]
	v_fmamk_f16 v71, v88, 0xbbb2, v136
	v_fmamk_f16 v75, v87, 0x2de8, v140
	;; [unrolled: 1-line block ×3, first 2 shown]
	v_fma_f16 v140, v87, 0x2de8, -v140
	v_fmac_f16_e32 v141, 0x3bf7, v88
	v_add_f16_e32 v74, v71, v72
	v_add_f16_e32 v71, v75, v137
	;; [unrolled: 1-line block ×5, first 2 shown]
	s_barrier
	buffer_gl0_inv
	s_and_saveexec_b32 s1, vcc_lo
	s_cbranch_execz .LBB0_17
; %bb.16:
	v_mul_f16_e32 v140, 0xb836, v68
	v_mul_f16_e32 v139, 0xbacd, v67
	;; [unrolled: 1-line block ×5, first 2 shown]
	v_sub_f16_e32 v111, v111, v140
	v_add_f16_e32 v105, v139, v105
	v_sub_f16_e32 v115, v115, v144
	v_mul_f16_e32 v147, 0x2de8, v77
	v_mul_f16_e32 v152, 0x3a62, v80
	v_add_f16_e32 v111, v56, v111
	v_add_f16_e32 v105, v55, v105
	;; [unrolled: 1-line block ×3, first 2 shown]
	v_mul_f16_e32 v138, 0xba62, v68
	v_mul_f16_e32 v151, 0xb8d2, v79
	v_add_f16_e32 v111, v115, v111
	v_sub_f16_e32 v115, v119, v148
	v_mul_f16_e32 v156, 0xb5c8, v82
	v_add_f16_e32 v105, v113, v105
	v_add_f16_e32 v113, v147, v117
	v_mul_f16_e32 v142, 0x3bb2, v76
	v_add_f16_e32 v111, v115, v111
	v_sub_f16_e32 v115, v123, v152
	v_mul_f16_e32 v155, 0x3b76, v81
	v_mul_f16_e32 v159, 0xb1e1, v84
	v_sub_f16_e32 v92, v92, v138
	v_add_f16_e32 v105, v113, v105
	v_add_f16_e32 v111, v115, v111
	v_sub_f16_e32 v115, v128, v156
	v_add_f16_e32 v113, v151, v120
	v_mul_f16_e32 v146, 0xb5c8, v78
	v_mul_f16_e32 v158, 0xbbdd, v83
	;; [unrolled: 1-line block ×3, first 2 shown]
	v_add_f16_e32 v111, v115, v111
	v_sub_f16_e32 v115, v131, v159
	v_add_f16_e32 v92, v56, v92
	v_sub_f16_e32 v109, v109, v142
	v_add_f16_e32 v105, v113, v105
	v_add_f16_e32 v113, v155, v125
	v_mul_f16_e32 v137, 0xb8d2, v67
	v_mul_f16_e32 v150, 0xb836, v80
	;; [unrolled: 1-line block ×4, first 2 shown]
	v_add_f16_e32 v111, v115, v111
	v_sub_f16_e32 v115, v134, v119
	v_add_f16_e32 v92, v109, v92
	v_sub_f16_e32 v109, v114, v146
	v_add_f16_e32 v105, v113, v105
	v_add_f16_e32 v113, v158, v130
	v_mul_f16_e32 v141, 0xb461, v70
	v_mul_f16_e32 v154, 0x3bf7, v82
	;; [unrolled: 1-line block ×3, first 2 shown]
	v_add_f16_e32 v111, v115, v111
	v_sub_f16_e32 v114, v136, v117
	v_add_f16_e32 v109, v109, v92
	v_sub_f16_e32 v115, v118, v150
	v_add_f16_e32 v105, v113, v105
	v_add_f16_e32 v113, v161, v133
	;; [unrolled: 1-line block ×3, first 2 shown]
	v_mul_f16_e32 v145, 0x3b76, v77
	v_mul_f16_e32 v157, 0xb964, v84
	v_add_f16_e32 v92, v114, v111
	v_add_f16_e32 v109, v115, v109
	v_sub_f16_e32 v111, v122, v154
	v_add_f16_e32 v105, v113, v105
	v_add_f16_e32 v113, v143, v135
	;; [unrolled: 1-line block ×4, first 2 shown]
	v_mul_f16_e32 v149, 0xbacd, v79
	v_mul_f16_e32 v160, 0xb1e1, v86
	v_add_f16_e32 v109, v111, v109
	v_sub_f16_e32 v111, v126, v157
	v_add_f16_e32 v95, v113, v105
	v_mul_f16_e32 v113, 0xb461, v93
	v_add_f16_e32 v98, v98, v114
	v_add_f16_e32 v101, v145, v101
	v_mul_f16_e32 v153, 0x2de8, v81
	v_add_f16_e32 v105, v111, v109
	v_sub_f16_e32 v109, v129, v160
	v_fmamk_f16 v111, v68, 0x3bb2, v113
	v_mul_f16_e32 v114, 0xbacd, v96
	v_add_f16_e32 v98, v101, v98
	v_add_f16_e32 v101, v149, v112
	v_mul_f16_e32 v140, 0x39e9, v83
	v_mul_f16_e32 v123, 0x3b29, v88
	v_add_f16_e32 v105, v109, v105
	v_add_f16_e32 v109, v56, v111
	v_fmamk_f16 v111, v76, 0xb836, v114
	v_mul_f16_e32 v115, 0x39e9, v99
	v_add_f16_e32 v98, v101, v98
	v_add_f16_e32 v101, v153, v116
	v_mul_f16_e32 v144, 0xbbdd, v85
	v_sub_f16_e32 v112, v132, v123
	v_add_f16_e32 v109, v111, v109
	v_fmamk_f16 v111, v78, 0xb964, v115
	v_mul_f16_e32 v116, 0x3722, v102
	v_add_f16_e32 v101, v101, v98
	v_add_f16_e32 v117, v140, v121
	;; [unrolled: 1-line block ×4, first 2 shown]
	v_fmamk_f16 v109, v80, 0x3b29, v116
	v_mul_f16_e32 v118, 0xbbdd, v107
	v_add_f16_e32 v101, v117, v101
	v_add_f16_e32 v111, v144, v124
	v_mul_f16_e32 v117, 0xbbb2, v89
	v_mul_f16_e32 v139, 0x3722, v87
	v_add_f16_e32 v105, v109, v105
	v_fmamk_f16 v109, v82, 0x31e1, v118
	v_mul_f16_e32 v119, 0x2de8, v104
	v_add_f16_e32 v101, v111, v101
	v_fmamk_f16 v111, v67, 0xb461, v117
	;; [unrolled: 3-line block ×4, first 2 shown]
	v_mul_f16_e32 v122, 0x3964, v91
	v_add_f16_e32 v123, v139, v127
	v_add_f16_e32 v105, v109, v105
	v_fmamk_f16 v109, v86, 0x35c8, v121
	v_add_f16_e32 v111, v112, v111
	v_fmamk_f16 v112, v77, 0x39e9, v122
	v_mul_f16_e32 v124, 0xbb29, v94
	v_add_f16_e32 v101, v123, v101
	v_mul_f16_e32 v123, 0x2de8, v93
	v_add_f16_e32 v105, v109, v105
	v_add_f16_e32 v109, v112, v111
	v_fmamk_f16 v111, v79, 0x3722, v124
	v_mul_f16_e32 v125, 0xb1e1, v97
	v_fmamk_f16 v112, v68, 0x3bf7, v123
	v_mul_f16_e32 v127, 0xbbdd, v96
	v_mul_f16_e32 v126, 0xb8d2, v110
	v_add_f16_e32 v109, v111, v109
	v_fmamk_f16 v111, v81, 0xbbdd, v125
	v_mul_f16_e32 v128, 0x3bf7, v100
	v_add_f16_e32 v112, v56, v112
	v_fmamk_f16 v129, v76, 0x31e1, v127
	;; [unrolled: 3-line block ×4, first 2 shown]
	v_mul_f16_e32 v132, 0x3b76, v102
	v_fmamk_f16 v133, v88, 0x3a62, v126
	v_add_f16_e32 v109, v111, v109
	v_fmamk_f16 v111, v85, 0x3b76, v131
	v_add_f16_e32 v112, v129, v112
	v_fmamk_f16 v129, v80, 0xb5c8, v132
	v_mul_f16_e32 v134, 0x3722, v107
	v_add_f16_e32 v105, v133, v105
	v_mul_f16_e32 v133, 0xbbf7, v89
	v_mul_f16_e32 v135, 0xba62, v106
	v_add_f16_e32 v109, v111, v109
	v_add_f16_e32 v111, v129, v112
	v_fmamk_f16 v112, v82, 0x3b29, v134
	v_mul_f16_e32 v129, 0xbacd, v104
	v_fmamk_f16 v136, v67, 0x2de8, v133
	v_mul_f16_e32 v137, 0xb1e1, v90
	v_fmamk_f16 v141, v87, 0xb8d2, v135
	v_add_f16_e32 v111, v112, v111
	v_fmamk_f16 v112, v84, 0x3836, v129
	v_mul_f16_e32 v138, 0xb8d2, v108
	v_add_f16_e32 v136, v55, v136
	v_fmamk_f16 v139, v70, 0xbbdd, v137
	v_mul_f16_e32 v140, 0x3bb2, v91
	v_add_f16_e32 v109, v141, v109
	v_mul_f16_e32 v141, 0x3722, v93
	v_add_f16_e32 v111, v112, v111
	v_fmamk_f16 v112, v86, 0xba62, v138
	v_add_f16_e32 v136, v139, v136
	v_fmamk_f16 v139, v77, 0xb461, v140
	v_mul_f16_e32 v142, 0x35c8, v94
	v_fmamk_f16 v144, v68, 0x3b29, v141
	v_mul_f16_e32 v145, 0xb8d2, v96
	v_add_f16_e32 v111, v112, v111
	v_add_f16_e32 v112, v139, v136
	v_fmamk_f16 v136, v79, 0x3b76, v142
	v_mul_f16_e32 v139, 0xbb29, v97
	v_add_f16_e32 v144, v56, v144
	v_fmamk_f16 v147, v76, 0x3a62, v145
	v_mul_f16_e32 v148, 0xbbdd, v99
	v_mul_f16_e32 v143, 0x39e9, v110
	v_add_f16_e32 v112, v136, v112
	v_fmamk_f16 v136, v81, 0x3722, v139
	v_mul_f16_e32 v146, 0xb836, v100
	v_add_f16_e32 v144, v147, v144
	v_fmamk_f16 v147, v78, 0xb1e1, v148
	v_mul_f16_e32 v150, 0xb461, v102
	v_add_f16_e32 v112, v136, v112
	v_fmamk_f16 v136, v83, 0xbacd, v146
	v_mul_f16_e32 v149, 0x3a62, v103
	v_fmamk_f16 v151, v88, 0xb964, v143
	v_add_f16_e32 v144, v147, v144
	v_fmamk_f16 v147, v80, 0xbbb2, v150
	v_mul_f16_e32 v152, 0x39e9, v107
	v_add_f16_e32 v112, v136, v112
	v_fmamk_f16 v136, v85, 0xb8d2, v149
	v_add_f16_e32 v111, v151, v111
	v_add_f16_e32 v144, v147, v144
	v_fmamk_f16 v147, v82, 0xb964, v152
	v_mul_f16_e32 v151, 0x3b76, v104
	v_add_f16_e32 v112, v136, v112
	v_mul_f16_e32 v136, 0xbb29, v89
	v_mul_f16_e32 v156, 0x2de8, v108
	v_add_f16_e32 v144, v147, v144
	v_fmamk_f16 v147, v84, 0x35c8, v151
	v_mul_f16_e32 v155, 0xba62, v90
	v_fmamk_f16 v154, v67, 0x3722, v136
	v_mul_f16_e32 v153, 0x3964, v106
	v_mul_f16_e32 v158, 0x31e1, v91
	v_add_f16_e32 v144, v147, v144
	v_fmamk_f16 v147, v86, 0x3bf7, v156
	v_add_f16_e32 v154, v55, v154
	v_fmamk_f16 v157, v70, 0xb8d2, v155
	;; [unrolled: 2-line block ×3, first 2 shown]
	v_add_f16_e32 v144, v147, v144
	v_mul_f16_e32 v147, 0x39e9, v93
	v_mul_f16_e32 v93, 0x3b76, v93
	v_add_f16_e32 v154, v157, v154
	v_fmamk_f16 v157, v77, 0xbbdd, v158
	v_mul_f16_e32 v160, 0x3bb2, v94
	v_mul_f16_e32 v163, 0x2de8, v96
	v_fmamk_f16 v179, v68, 0x35c8, v93
	v_mul_f16_e32 v96, 0x39e9, v96
	v_add_f16_e32 v28, v29, v28
	v_add_f16_e32 v112, v159, v112
	;; [unrolled: 1-line block ×3, first 2 shown]
	v_fmamk_f16 v157, v79, 0xb461, v160
	v_mul_f16_e32 v159, 0x3964, v97
	v_mul_f16_e32 v166, 0xb8d2, v99
	v_add_f16_e32 v179, v56, v179
	v_fmamk_f16 v181, v76, 0x3964, v96
	v_mul_f16_e32 v99, 0x3722, v99
	v_add_f16_e32 v28, v34, v28
	v_mul_f16_e32 v161, 0xbacd, v110
	v_add_f16_e32 v154, v157, v154
	v_fmamk_f16 v157, v81, 0x39e9, v159
	v_mul_f16_e32 v164, 0xb5c8, v100
	v_mul_f16_e32 v168, 0xbbdd, v102
	v_add_f16_e32 v179, v181, v179
	v_fmamk_f16 v181, v78, 0x3b29, v99
	v_mul_f16_e32 v102, 0x2de8, v102
	v_add_f16_e32 v66, v66, v56
	v_add_f16_e32 v28, v35, v28
	;; [unrolled: 1-line block ×3, first 2 shown]
	v_fmamk_f16 v157, v83, 0x3b76, v164
	v_mul_f16_e32 v167, 0xbbf7, v103
	v_fmamk_f16 v169, v88, 0x3836, v161
	v_mul_f16_e32 v170, 0xbacd, v107
	v_add_f16_e32 v179, v181, v179
	v_fmamk_f16 v181, v80, 0x3bf7, v102
	v_mul_f16_e32 v107, 0xb461, v107
	v_add_f16_e32 v29, v65, v66
	v_add_f16_e32 v28, v30, v28
	v_add_f16_e32 v154, v157, v154
	v_fmamk_f16 v157, v85, 0x2de8, v167
	v_add_f16_e32 v144, v169, v144
	v_mul_f16_e32 v169, 0xb461, v104
	v_add_f16_e32 v179, v181, v179
	v_fmamk_f16 v181, v82, 0x3bb2, v107
	v_mul_f16_e32 v104, 0xb8d2, v104
	v_add_f16_e32 v29, v64, v29
	v_add_f16_e32 v28, v31, v28
	;; [unrolled: 1-line block ×3, first 2 shown]
	v_mul_f16_e32 v157, 0xb964, v89
	v_add_f16_e32 v179, v181, v179
	v_fmamk_f16 v65, v84, 0x3a62, v104
	v_mul_f16_e32 v89, 0xb5c8, v89
	v_add_f16_e32 v29, v63, v29
	v_add_f16_e32 v28, v32, v28
	v_mul_f16_e32 v35, 0xb964, v90
	v_add_f16_e32 v34, v65, v179
	v_fmamk_f16 v65, v67, 0x3b76, v89
	v_add_f16_e32 v29, v62, v29
	v_add_f16_e32 v28, v33, v28
	v_fmamk_f16 v30, v70, 0x39e9, v35
	v_mul_f16_e32 v62, 0xbb29, v91
	v_add_f16_e32 v65, v55, v65
	v_add_f16_e32 v29, v61, v29
	;; [unrolled: 1-line block ×3, first 2 shown]
	v_mul_f16_e32 v61, 0xbbf7, v94
	v_fmamk_f16 v31, v77, 0x3722, v62
	v_add_f16_e32 v30, v30, v65
	v_add_f16_e32 v29, v60, v29
	;; [unrolled: 1-line block ×3, first 2 shown]
	v_fmac_f16_e32 v113, 0xbbb2, v68
	v_fmac_f16_e32 v114, 0x3836, v76
	v_add_f16_e32 v30, v31, v30
	v_fmamk_f16 v31, v79, 0x2de8, v61
	v_add_f16_e32 v29, v59, v29
	v_mul_f16_e32 v59, 0xbbb2, v97
	v_add_f16_e32 v22, v22, v26
	v_fmac_f16_e32 v115, 0x3964, v78
	v_add_f16_e32 v30, v31, v30
	v_add_f16_e32 v28, v58, v29
	v_fmamk_f16 v29, v81, 0xb461, v59
	v_mul_f16_e32 v31, 0xba62, v100
	v_add_f16_e32 v22, v23, v22
	v_fmac_f16_e32 v116, 0xbb29, v80
	v_add_f16_e32 v27, v57, v28
	v_add_f16_e32 v28, v56, v113
	v_add_f16_e32 v29, v29, v30
	v_fmamk_f16 v30, v83, 0xb8d2, v31
	v_add_f16_e32 v20, v20, v22
	v_add_f16_e32 v26, v54, v27
	;; [unrolled: 1-line block ×3, first 2 shown]
	v_mul_f16_e32 v64, 0xbacd, v108
	v_add_f16_e32 v28, v30, v29
	v_mul_f16_e32 v29, 0xb836, v103
	v_add_f16_e32 v20, v21, v20
	v_add_f16_e32 v23, v49, v26
	;; [unrolled: 1-line block ×3, first 2 shown]
	v_mul_f16_e32 v30, 0xb1e1, v106
	v_fmamk_f16 v27, v85, 0xbacd, v29
	v_add_f16_e32 v18, v18, v20
	v_add_f16_e32 v22, v48, v23
	v_add_f16_e32 v23, v116, v26
	v_fmac_f16_e32 v123, 0xbbf7, v68
	v_add_f16_e32 v26, v27, v28
	v_fmamk_f16 v27, v87, 0xbbdd, v30
	v_add_f16_e32 v18, v19, v18
	v_fma_f16 v19, v67, 0xb461, -v117
	v_fmamk_f16 v63, v86, 0x3836, v64
	v_mul_f16_e32 v32, 0xbbdd, v110
	v_add_f16_e32 v20, v27, v26
	v_fma_f16 v26, v70, 0xbacd, -v120
	v_add_f16_e32 v19, v55, v19
	v_add_f16_e32 v27, v56, v123
	v_fmac_f16_e32 v127, 0xb1e1, v76
	v_add_f16_e32 v34, v63, v34
	v_fmamk_f16 v33, v88, 0x31e1, v32
	v_fmac_f16_e32 v118, 0xb1e1, v82
	v_fma_f16 v28, v67, 0x2de8, -v133
	v_add_f16_e32 v19, v26, v19
	v_fma_f16 v26, v77, 0x39e9, -v122
	v_add_f16_e32 v27, v127, v27
	v_fmac_f16_e32 v130, 0x3bb2, v78
	v_add_f16_e32 v21, v47, v22
	v_add_f16_e32 v22, v118, v23
	;; [unrolled: 1-line block ×4, first 2 shown]
	v_fma_f16 v33, v70, 0xbbdd, -v137
	v_add_f16_e32 v19, v26, v19
	v_fma_f16 v26, v79, 0x3722, -v124
	v_add_f16_e32 v27, v130, v27
	v_fmac_f16_e32 v132, 0x35c8, v80
	v_add_f16_e32 v28, v33, v28
	v_fma_f16 v33, v77, 0xb461, -v140
	v_add_f16_e32 v19, v26, v19
	v_fma_f16 v26, v81, 0xbbdd, -v125
	v_add_f16_e32 v27, v132, v27
	v_fmac_f16_e32 v134, 0xbb29, v82
	v_add_f16_e32 v28, v33, v28
	;; [unrolled: 6-line block ×5, first 2 shown]
	v_add_f16_e32 v28, v33, v28
	v_fma_f16 v33, v85, 0xb8d2, -v149
	v_add_f16_e32 v19, v26, v19
	v_fmac_f16_e32 v141, 0xbb29, v68
	v_add_f16_e32 v26, v143, v27
	v_fma_f16 v27, v67, 0x3722, -v136
	v_fmamk_f16 v162, v68, 0x3964, v147
	v_add_f16_e32 v21, v44, v21
	v_add_f16_e32 v28, v33, v28
	v_fma_f16 v33, v87, 0x39e9, -v153
	v_add_f16_e32 v34, v56, v141
	v_fmac_f16_e32 v145, 0xba62, v76
	v_add_f16_e32 v27, v55, v27
	v_fma_f16 v44, v70, 0xb8d2, -v155
	v_fmac_f16_e32 v147, 0xb964, v68
	v_add_f16_e32 v162, v56, v162
	v_fmamk_f16 v165, v76, 0x3bf7, v163
	v_add_f16_e32 v28, v33, v28
	v_add_f16_e32 v33, v145, v34
	;; [unrolled: 1-line block ×3, first 2 shown]
	v_fma_f16 v34, v77, 0xbbdd, -v158
	v_add_f16_e32 v44, v56, v147
	v_fmac_f16_e32 v163, 0xbbf7, v76
	v_add_f16_e32 v162, v165, v162
	v_fmamk_f16 v165, v78, 0x3a62, v166
	v_add_f16_e32 v27, v34, v27
	v_fma_f16 v34, v79, 0xb461, -v160
	v_add_f16_e32 v44, v163, v44
	v_fmac_f16_e32 v166, 0xba62, v78
	v_add_f16_e32 v162, v165, v162
	v_fmamk_f16 v165, v80, 0x31e1, v168
	v_add_f16_e32 v27, v34, v27
	v_fma_f16 v34, v81, 0x39e9, -v159
	v_add_f16_e32 v44, v166, v44
	v_fmac_f16_e32 v168, 0xb1e1, v80
	v_add_f16_e32 v162, v165, v162
	v_fmamk_f16 v165, v82, 0xb836, v170
	v_fmamk_f16 v172, v67, 0x39e9, v157
	v_mul_f16_e32 v173, 0xbbf7, v90
	v_add_f16_e32 v27, v34, v27
	v_fma_f16 v34, v83, 0x3b76, -v164
	v_add_f16_e32 v44, v168, v44
	v_fmac_f16_e32 v170, 0x3836, v82
	v_add_f16_e32 v162, v165, v162
	v_fmamk_f16 v165, v84, 0xbbb2, v169
	v_mul_f16_e32 v174, 0x3722, v108
	v_add_f16_e32 v172, v55, v172
	v_fmamk_f16 v175, v70, 0x2de8, v173
	v_mul_f16_e32 v176, 0xba62, v91
	v_mul_f16_e32 v171, 0xb836, v106
	v_add_f16_e32 v27, v34, v27
	v_fma_f16 v34, v85, 0x2de8, -v167
	v_add_f16_e32 v44, v170, v44
	v_fmac_f16_e32 v169, 0x3bb2, v84
	v_add_f16_e32 v162, v165, v162
	v_fmamk_f16 v165, v86, 0xbb29, v174
	v_add_f16_e32 v172, v175, v172
	v_fmamk_f16 v175, v77, 0xb8d2, v176
	v_mul_f16_e32 v178, 0xb1e1, v94
	v_add_f16_e32 v27, v34, v27
	v_fma_f16 v34, v87, 0xbacd, -v171
	v_add_f16_e32 v44, v169, v44
	v_fmac_f16_e32 v174, 0x3b29, v86
	v_fma_f16 v45, v67, 0x39e9, -v157
	v_fmac_f16_e32 v93, 0xb5c8, v68
	v_fma_f16 v48, v67, 0x3b76, -v89
	v_add_f16_e32 v162, v165, v162
	v_add_f16_e32 v165, v175, v172
	v_fmamk_f16 v172, v79, 0xbbdd, v178
	v_mul_f16_e32 v175, 0x3836, v97
	v_add_f16_e32 v27, v34, v27
	v_add_f16_e32 v34, v174, v44
	;; [unrolled: 1-line block ×3, first 2 shown]
	v_fma_f16 v45, v70, 0x2de8, -v173
	v_add_f16_e32 v47, v56, v93
	v_fmac_f16_e32 v96, 0xb964, v76
	v_add_f16_e32 v48, v55, v48
	v_fma_f16 v35, v70, 0x39e9, -v35
	v_add_f16_e32 v165, v172, v165
	v_fmamk_f16 v172, v81, 0xbacd, v175
	v_mul_f16_e32 v180, 0x3bb2, v100
	v_add_f16_e32 v44, v45, v44
	v_fma_f16 v45, v77, 0xb8d2, -v176
	v_fmac_f16_e32 v148, 0x31e1, v78
	v_add_f16_e32 v47, v96, v47
	v_fmac_f16_e32 v99, 0xbb29, v78
	v_add_f16_e32 v35, v35, v48
	v_fma_f16 v48, v77, 0x3722, -v62
	v_fmamk_f16 v177, v87, 0xbacd, v171
	v_add_f16_e32 v165, v172, v165
	v_fmamk_f16 v172, v83, 0xb461, v180
	v_mul_f16_e32 v182, 0x3b29, v103
	v_add_f16_e32 v44, v45, v44
	v_fma_f16 v45, v79, 0xbbdd, -v178
	v_add_f16_e32 v33, v148, v33
	v_fmac_f16_e32 v150, 0x3bb2, v80
	v_add_f16_e32 v47, v99, v47
	v_fmac_f16_e32 v102, 0xbbf7, v80
	v_add_f16_e32 v35, v48, v35
	v_fma_f16 v48, v79, 0x2de8, -v61
	v_add_f16_e32 v154, v177, v154
	v_mul_f16_e32 v177, 0x3b76, v110
	v_add_f16_e32 v165, v172, v165
	v_fmamk_f16 v172, v85, 0x3722, v182
	v_add_f16_e32 v44, v45, v44
	v_fma_f16 v45, v81, 0xbacd, -v175
	v_add_f16_e32 v33, v150, v33
	v_fmac_f16_e32 v152, 0x3964, v82
	v_add_f16_e32 v47, v102, v47
	v_fmac_f16_e32 v107, 0xbbb2, v82
	v_add_f16_e32 v35, v48, v35
	v_fma_f16 v48, v81, 0xb461, -v59
	v_fmamk_f16 v183, v88, 0xb5c8, v177
	v_add_f16_e32 v165, v172, v165
	v_mul_f16_e32 v172, 0x35c8, v106
	v_fmac_f16_e32 v119, 0x3bf7, v84
	v_add_f16_e32 v44, v45, v44
	v_fma_f16 v45, v83, 0xb461, -v180
	v_add_f16_e32 v33, v152, v33
	v_fmac_f16_e32 v151, 0xb5c8, v84
	v_add_f16_e32 v47, v107, v47
	v_fmac_f16_e32 v104, 0xba62, v84
	v_add_f16_e32 v35, v48, v35
	v_fma_f16 v31, v83, 0xb8d2, -v31
	v_add_f16_e32 v162, v183, v162
	v_fmamk_f16 v183, v87, 0x3b76, v172
	v_add_f16_e32 v22, v119, v22
	v_fmac_f16_e32 v121, 0xb5c8, v86
	v_add_f16_e32 v44, v45, v44
	v_fma_f16 v45, v85, 0x3722, -v182
	v_add_f16_e32 v33, v151, v33
	v_fmac_f16_e32 v156, 0xbbf7, v86
	v_add_f16_e32 v47, v104, v47
	v_fmac_f16_e32 v64, 0xb836, v86
	v_add_f16_e32 v31, v31, v35
	v_fma_f16 v29, v85, 0xbacd, -v29
	v_and_b32_e32 v35, 0xffff, v43
	v_add_f16_e32 v66, v183, v165
	v_add_f16_e32 v22, v121, v22
	v_fmac_f16_e32 v126, 0xba62, v88
	v_add_f16_e32 v44, v45, v44
	v_fma_f16 v45, v87, 0x3b76, -v172
	v_add_f16_e32 v33, v156, v33
	v_fmac_f16_e32 v161, 0xb836, v88
	v_fmac_f16_e32 v177, 0x35c8, v88
	v_add_f16_e32 v47, v64, v47
	v_fmac_f16_e32 v32, 0xb1e1, v88
	v_add_f16_e32 v29, v29, v31
	v_fma_f16 v30, v87, 0xbbdd, -v30
	v_lshl_add_u32 v31, v35, 2, v41
	v_pack_b32_f16 v20, v20, v23
	v_pack_b32_f16 v18, v18, v21
	;; [unrolled: 1-line block ×4, first 2 shown]
	v_add_f16_e32 v22, v126, v22
	v_add_f16_e32 v43, v45, v44
	v_pack_b32_f16 v35, v109, v105
	v_pack_b32_f16 v44, v112, v111
	v_add_f16_e32 v33, v161, v33
	v_add_f16_e32 v34, v177, v34
	;; [unrolled: 1-line block ×3, first 2 shown]
	v_pack_b32_f16 v45, v95, v92
	v_pack_b32_f16 v47, v101, v98
	v_add_f16_e32 v29, v30, v29
	ds_write2_b32 v31, v18, v20 offset1:1
	ds_write2_b32 v31, v23, v21 offset0:2 offset1:3
	ds_write2_b32 v31, v44, v35 offset0:4 offset1:5
	;; [unrolled: 1-line block ×3, first 2 shown]
	v_perm_b32 v18, v75, v36, 0x5040100
	v_perm_b32 v20, v72, v71, 0x5040100
	;; [unrolled: 1-line block ×4, first 2 shown]
	v_pack_b32_f16 v26, v28, v26
	v_pack_b32_f16 v19, v19, v22
	;; [unrolled: 1-line block ×5, first 2 shown]
	ds_write2_b32 v31, v20, v18 offset0:8 offset1:9
	ds_write2_b32 v31, v23, v21 offset0:10 offset1:11
	ds_write2_b32 v31, v19, v26 offset0:12 offset1:13
	ds_write2_b32 v31, v27, v22 offset0:14 offset1:15
	ds_write_b32 v31, v28 offset:64
.LBB0_17:
	s_or_b32 exec_lo, exec_lo, s1
	v_add_nc_u32_e32 v28, 0x400, v46
	v_add_nc_u32_e32 v20, 0x800, v46
	s_waitcnt lgkmcnt(0)
	s_barrier
	buffer_gl0_inv
	ds_read2_b32 v[18:19], v46 offset1:68
	ds_read2_b32 v[26:27], v46 offset0:187 offset1:255
	ds_read2_b32 v[22:23], v28 offset0:118 offset1:186
	ds_read2_b32 v[20:21], v20 offset0:49 offset1:117
	s_and_saveexec_b32 s1, s0
	s_cbranch_execz .LBB0_19
; %bb.18:
	ds_read_b32 v71, v46 offset:544
	ds_read2_b32 v[36:37], v28 offset0:67 offset1:254
	ds_read_b32 v69, v46 offset:2788
	s_waitcnt lgkmcnt(2)
	v_lshrrev_b32_e32 v72, 16, v71
	s_waitcnt lgkmcnt(1)
	v_lshrrev_b32_e32 v75, 16, v36
	v_lshrrev_b32_e32 v74, 16, v37
	s_waitcnt lgkmcnt(0)
	v_lshrrev_b32_e32 v73, 16, v69
.LBB0_19:
	s_or_b32 exec_lo, exec_lo, s1
	s_waitcnt lgkmcnt(1)
	v_lshrrev_b32_e32 v30, 16, v22
	v_lshrrev_b32_e32 v29, 16, v26
	s_waitcnt lgkmcnt(0)
	v_lshrrev_b32_e32 v31, 16, v20
	v_lshrrev_b32_e32 v33, 16, v27
	;; [unrolled: 1-line block ×3, first 2 shown]
	v_mul_f16_sdwa v44, v15, v30 dst_sel:DWORD dst_unused:UNUSED_PAD src0_sel:WORD_1 src1_sel:DWORD
	v_mul_f16_sdwa v35, v14, v29 dst_sel:DWORD dst_unused:UNUSED_PAD src0_sel:WORD_1 src1_sel:DWORD
	;; [unrolled: 1-line block ×4, first 2 shown]
	v_lshrrev_b32_e32 v45, 16, v21
	v_fmac_f16_e32 v44, v15, v22
	v_mul_f16_sdwa v22, v16, v31 dst_sel:DWORD dst_unused:UNUSED_PAD src0_sel:WORD_1 src1_sel:DWORD
	v_fmac_f16_e32 v35, v14, v26
	v_fma_f16 v14, v14, v29, -v43
	v_fma_f16 v15, v15, v30, -v47
	v_mul_f16_sdwa v26, v16, v20 dst_sel:DWORD dst_unused:UNUSED_PAD src0_sel:WORD_1 src1_sel:DWORD
	v_mul_f16_sdwa v29, v11, v33 dst_sel:DWORD dst_unused:UNUSED_PAD src0_sel:WORD_1 src1_sel:DWORD
	;; [unrolled: 1-line block ×3, first 2 shown]
	v_fmac_f16_e32 v22, v16, v20
	v_mul_f16_sdwa v20, v12, v34 dst_sel:DWORD dst_unused:UNUSED_PAD src0_sel:WORD_1 src1_sel:DWORD
	v_fma_f16 v16, v16, v31, -v26
	v_fmac_f16_e32 v29, v11, v27
	v_fma_f16 v11, v11, v33, -v30
	v_mul_f16_sdwa v30, v13, v45 dst_sel:DWORD dst_unused:UNUSED_PAD src0_sel:WORD_1 src1_sel:DWORD
	v_fmac_f16_e32 v20, v12, v23
	v_mul_f16_sdwa v23, v12, v23 dst_sel:DWORD dst_unused:UNUSED_PAD src0_sel:WORD_1 src1_sel:DWORD
	v_mul_f16_sdwa v31, v13, v21 dst_sel:DWORD dst_unused:UNUSED_PAD src0_sel:WORD_1 src1_sel:DWORD
	v_lshrrev_b32_e32 v28, 16, v18
	v_lshrrev_b32_e32 v32, 16, v19
	v_fmac_f16_e32 v30, v13, v21
	v_fma_f16 v12, v12, v34, -v23
	v_fma_f16 v13, v13, v45, -v31
	v_sub_f16_e32 v26, v18, v44
	v_sub_f16_e32 v22, v35, v22
	;; [unrolled: 1-line block ×8, first 2 shown]
	v_fma_f16 v18, v18, 2.0, -v26
	v_fma_f16 v27, v35, 2.0, -v22
	;; [unrolled: 1-line block ×8, first 2 shown]
	v_sub_f16_e32 v27, v18, v27
	v_sub_f16_e32 v14, v28, v14
	v_add_f16_e32 v16, v26, v16
	v_sub_f16_e32 v22, v15, v22
	v_sub_f16_e32 v29, v19, v29
	;; [unrolled: 1-line block ×3, first 2 shown]
	v_add_f16_e32 v13, v20, v13
	v_sub_f16_e32 v21, v12, v21
	v_fma_f16 v18, v18, 2.0, -v27
	v_fma_f16 v28, v28, 2.0, -v14
	;; [unrolled: 1-line block ×8, first 2 shown]
	v_pack_b32_f16 v18, v18, v28
	v_pack_b32_f16 v15, v26, v15
	;; [unrolled: 1-line block ×8, first 2 shown]
	s_barrier
	buffer_gl0_inv
	ds_write2_b32 v53, v18, v15 offset1:17
	ds_write2_b32 v53, v14, v16 offset0:34 offset1:51
	ds_write2_b32 v52, v19, v12 offset1:17
	ds_write2_b32 v52, v11, v13 offset0:34 offset1:51
	s_and_saveexec_b32 s1, s0
	s_cbranch_execz .LBB0_21
; %bb.20:
	v_mul_f16_sdwa v11, v9, v74 dst_sel:DWORD dst_unused:UNUSED_PAD src0_sel:WORD_1 src1_sel:DWORD
	v_mul_f16_sdwa v12, v8, v36 dst_sel:DWORD dst_unused:UNUSED_PAD src0_sel:WORD_1 src1_sel:DWORD
	;; [unrolled: 1-line block ×6, first 2 shown]
	v_fmac_f16_e32 v11, v9, v37
	v_fmac_f16_e32 v13, v8, v36
	;; [unrolled: 1-line block ×3, first 2 shown]
	v_fma_f16 v9, v9, v74, -v15
	v_fma_f16 v8, v8, v75, -v12
	;; [unrolled: 1-line block ×3, first 2 shown]
	v_sub_f16_e32 v11, v71, v11
	v_sub_f16_e32 v12, v13, v14
	;; [unrolled: 1-line block ×3, first 2 shown]
	v_mov_b32_e32 v16, 0x44
	v_sub_f16_e32 v10, v8, v10
	v_fma_f16 v14, v71, 2.0, -v11
	v_fma_f16 v13, v13, 2.0, -v12
	;; [unrolled: 1-line block ×3, first 2 shown]
	v_mul_u32_u24_sdwa v16, v50, v16 dst_sel:DWORD dst_unused:UNUSED_PAD src0_sel:WORD_0 src1_sel:DWORD
	v_fma_f16 v8, v8, 2.0, -v10
	v_add_f16_e32 v10, v11, v10
	v_sub_f16_e32 v13, v14, v13
	v_sub_f16_e32 v12, v9, v12
	v_add_nc_u32_e32 v16, v16, v51
	v_sub_f16_e32 v8, v15, v8
	v_fma_f16 v11, v11, 2.0, -v10
	v_fma_f16 v14, v14, 2.0, -v13
	;; [unrolled: 1-line block ×3, first 2 shown]
	v_lshl_add_u32 v16, v16, 2, v41
	v_fma_f16 v15, v15, 2.0, -v8
	v_pack_b32_f16 v8, v13, v8
	v_pack_b32_f16 v10, v10, v12
	;; [unrolled: 1-line block ×4, first 2 shown]
	ds_write2_b32 v16, v14, v9 offset1:17
	ds_write2_b32 v16, v8, v10 offset0:34 offset1:51
.LBB0_21:
	s_or_b32 exec_lo, exec_lo, s1
	s_waitcnt lgkmcnt(0)
	s_barrier
	buffer_gl0_inv
	ds_read2_b32 v[8:9], v46 offset1:68
	ds_read2_b32 v[10:11], v46 offset0:136 offset1:204
	v_add_nc_u32_e32 v14, 0x400, v46
	v_add_nc_u32_e32 v18, 0x800, v46
	ds_read_b32 v16, v46 offset:2720
	ds_read2_b32 v[12:13], v14 offset0:16 offset1:84
	ds_read2_b32 v[14:15], v14 offset0:152 offset1:220
	ds_read2_b32 v[18:19], v18 offset0:32 offset1:100
	s_waitcnt lgkmcnt(5)
	v_lshrrev_b32_e32 v20, 16, v9
	s_waitcnt lgkmcnt(4)
	v_lshrrev_b32_e32 v21, 16, v10
	v_lshrrev_b32_e32 v22, 16, v11
	v_mul_f16_sdwa v26, v4, v9 dst_sel:DWORD dst_unused:UNUSED_PAD src0_sel:WORD_1 src1_sel:DWORD
	v_mul_f16_sdwa v27, v5, v10 dst_sel:DWORD dst_unused:UNUSED_PAD src0_sel:WORD_1 src1_sel:DWORD
	;; [unrolled: 1-line block ×4, first 2 shown]
	s_waitcnt lgkmcnt(2)
	v_lshrrev_b32_e32 v29, 16, v12
	v_fma_f16 v20, v4, v20, -v26
	v_mul_f16_sdwa v26, v5, v21 dst_sel:DWORD dst_unused:UNUSED_PAD src0_sel:WORD_1 src1_sel:DWORD
	v_fma_f16 v21, v5, v21, -v27
	v_mul_f16_sdwa v27, v6, v22 dst_sel:DWORD dst_unused:UNUSED_PAD src0_sel:WORD_1 src1_sel:DWORD
	v_fmac_f16_e32 v35, v4, v9
	v_lshrrev_b32_e32 v30, 16, v13
	v_fma_f16 v22, v6, v22, -v28
	v_mul_f16_sdwa v28, v7, v29 dst_sel:DWORD dst_unused:UNUSED_PAD src0_sel:WORD_1 src1_sel:DWORD
	v_mul_f16_sdwa v36, v7, v12 dst_sel:DWORD dst_unused:UNUSED_PAD src0_sel:WORD_1 src1_sel:DWORD
	v_fmac_f16_e32 v26, v5, v10
	v_fmac_f16_e32 v27, v6, v11
	v_add_f16_e32 v6, v8, v35
	s_waitcnt lgkmcnt(1)
	v_lshrrev_b32_e32 v31, 16, v14
	v_fmac_f16_e32 v28, v7, v12
	v_mul_f16_sdwa v4, v0, v30 dst_sel:DWORD dst_unused:UNUSED_PAD src0_sel:WORD_1 src1_sel:DWORD
	v_fma_f16 v5, v7, v29, -v36
	v_mul_f16_sdwa v7, v0, v13 dst_sel:DWORD dst_unused:UNUSED_PAD src0_sel:WORD_1 src1_sel:DWORD
	v_add_f16_sdwa v10, v8, v20 dst_sel:DWORD dst_unused:UNUSED_PAD src0_sel:WORD_1 src1_sel:DWORD
	v_add_f16_e32 v6, v6, v26
	v_lshrrev_b32_e32 v32, 16, v15
	v_mul_f16_sdwa v9, v1, v31 dst_sel:DWORD dst_unused:UNUSED_PAD src0_sel:WORD_1 src1_sel:DWORD
	v_fmac_f16_e32 v4, v0, v13
	v_fma_f16 v0, v0, v30, -v7
	v_mul_f16_sdwa v7, v1, v14 dst_sel:DWORD dst_unused:UNUSED_PAD src0_sel:WORD_1 src1_sel:DWORD
	v_add_f16_e32 v10, v10, v21
	v_add_f16_e32 v6, v6, v27
	s_waitcnt lgkmcnt(0)
	v_lshrrev_b32_e32 v33, 16, v18
	v_fmac_f16_e32 v9, v1, v14
	v_mul_f16_sdwa v11, v2, v32 dst_sel:DWORD dst_unused:UNUSED_PAD src0_sel:WORD_1 src1_sel:DWORD
	v_mul_f16_sdwa v12, v2, v15 dst_sel:DWORD dst_unused:UNUSED_PAD src0_sel:WORD_1 src1_sel:DWORD
	v_fma_f16 v1, v1, v31, -v7
	v_add_f16_e32 v7, v10, v22
	v_add_f16_e32 v6, v6, v28
	v_fmac_f16_e32 v11, v2, v15
	v_fma_f16 v2, v2, v32, -v12
	v_mul_f16_sdwa v10, v3, v33 dst_sel:DWORD dst_unused:UNUSED_PAD src0_sel:WORD_1 src1_sel:DWORD
	v_add_f16_e32 v7, v7, v5
	v_add_f16_e32 v6, v6, v4
	v_mul_f16_sdwa v12, v3, v18 dst_sel:DWORD dst_unused:UNUSED_PAD src0_sel:WORD_1 src1_sel:DWORD
	v_lshrrev_b32_e32 v23, 16, v16
	v_lshrrev_b32_e32 v34, 16, v19
	v_fmac_f16_e32 v10, v3, v18
	v_add_f16_e32 v7, v7, v0
	v_add_f16_e32 v6, v6, v9
	v_fma_f16 v3, v3, v33, -v12
	v_mul_f16_sdwa v12, v25, v16 dst_sel:DWORD dst_unused:UNUSED_PAD src0_sel:WORD_1 src1_sel:DWORD
	v_mul_f16_sdwa v13, v24, v34 dst_sel:DWORD dst_unused:UNUSED_PAD src0_sel:WORD_1 src1_sel:DWORD
	v_add_f16_e32 v7, v7, v1
	v_add_f16_e32 v6, v6, v11
	v_mul_f16_sdwa v14, v24, v19 dst_sel:DWORD dst_unused:UNUSED_PAD src0_sel:WORD_1 src1_sel:DWORD
	v_mul_f16_sdwa v15, v25, v23 dst_sel:DWORD dst_unused:UNUSED_PAD src0_sel:WORD_1 src1_sel:DWORD
	v_fma_f16 v12, v25, v23, -v12
	v_fmac_f16_e32 v13, v24, v19
	v_add_f16_e32 v7, v7, v2
	v_add_f16_e32 v6, v6, v10
	v_fma_f16 v14, v24, v34, -v14
	v_fmac_f16_e32 v15, v25, v16
	v_sub_f16_e32 v16, v20, v12
	v_add_f16_e32 v7, v7, v3
	v_add_f16_e32 v6, v6, v13
	;; [unrolled: 1-line block ×4, first 2 shown]
	v_mul_f16_e32 v20, 0xb853, v16
	v_sub_f16_e32 v45, v21, v14
	v_add_f16_e32 v7, v7, v14
	v_sub_f16_e32 v23, v35, v15
	v_mul_f16_e32 v24, 0x3abb, v18
	v_fmamk_f16 v25, v19, 0x3abb, v20
	v_add_f16_e32 v6, v6, v15
	v_mul_f16_e32 v15, 0xbb47, v16
	v_mul_f16_e32 v30, 0x36a6, v18
	;; [unrolled: 1-line block ×8, first 2 shown]
	v_add_f16_e32 v47, v26, v13
	v_mul_f16_e32 v48, 0xbb47, v45
	v_add_f16_e32 v14, v21, v14
	v_add_f16_e32 v7, v7, v12
	v_fmamk_f16 v12, v23, 0x3853, v24
	v_add_f16_e32 v25, v8, v25
	v_fma_f16 v20, v19, 0x3abb, -v20
	v_fmac_f16_e32 v24, 0xb853, v23
	v_fmamk_f16 v29, v19, 0x36a6, v15
	v_fmamk_f16 v32, v23, 0x3b47, v30
	v_fma_f16 v15, v19, 0x36a6, -v15
	v_fmac_f16_e32 v30, 0xbb47, v23
	v_fmamk_f16 v33, v19, 0xb08e, v31
	v_fmamk_f16 v35, v23, 0x3beb, v34
	v_fma_f16 v31, v19, 0xb08e, -v31
	v_fmac_f16_e32 v34, 0xbbeb, v23
	v_fmamk_f16 v41, v19, 0xb93d, v36
	v_fmamk_f16 v43, v23, 0x3a0c, v37
	v_fma_f16 v36, v19, 0xb93d, -v36
	v_fmac_f16_e32 v37, 0xba0c, v23
	v_fmamk_f16 v44, v19, 0xbbad, v16
	v_fmamk_f16 v46, v23, 0x3482, v18
	v_fma_f16 v16, v19, 0xbbad, -v16
	v_fmac_f16_e32 v18, 0xb482, v23
	v_sub_f16_e32 v13, v26, v13
	v_fmamk_f16 v19, v47, 0x36a6, v48
	v_mul_f16_e32 v21, 0x36a6, v14
	v_add_f16_sdwa v12, v8, v12 dst_sel:DWORD dst_unused:UNUSED_PAD src0_sel:WORD_1 src1_sel:DWORD
	v_add_f16_e32 v20, v8, v20
	v_add_f16_sdwa v24, v8, v24 dst_sel:DWORD dst_unused:UNUSED_PAD src0_sel:WORD_1 src1_sel:DWORD
	v_add_f16_e32 v29, v8, v29
	;; [unrolled: 2-line block ×10, first 2 shown]
	v_fmamk_f16 v19, v13, 0x3b47, v21
	v_mul_f16_e32 v25, 0xba0c, v45
	v_fma_f16 v26, v47, 0x36a6, -v48
	v_fmac_f16_e32 v21, 0xbb47, v13
	v_mul_f16_e32 v46, 0xb93d, v14
	v_add_f16_e32 v12, v19, v12
	v_fmamk_f16 v19, v47, 0xb93d, v25
	v_add_f16_e32 v20, v26, v20
	v_add_f16_e32 v21, v21, v24
	v_fmamk_f16 v24, v13, 0x3a0c, v46
	v_mul_f16_e32 v26, 0x3482, v45
	v_add_f16_e32 v19, v19, v29
	v_fma_f16 v25, v47, 0xb93d, -v25
	v_fmac_f16_e32 v46, 0xba0c, v13
	v_add_f16_e32 v24, v24, v32
	v_fmamk_f16 v29, v47, 0xbbad, v26
	v_mul_f16_e32 v32, 0xbbad, v14
	v_add_f16_e32 v15, v25, v15
	v_add_f16_e32 v25, v46, v30
	v_mul_f16_e32 v30, 0x3beb, v45
	v_add_f16_e32 v29, v29, v33
	v_fmamk_f16 v33, v13, 0xb482, v32
	v_fma_f16 v26, v47, 0xbbad, -v26
	v_fmac_f16_e32 v32, 0x3482, v13
	v_mul_f16_e32 v48, 0xb08e, v14
	v_fmamk_f16 v46, v47, 0xb08e, v30
	v_mul_f16_e32 v14, 0x3abb, v14
	v_add_f16_e32 v26, v26, v31
	v_add_f16_e32 v31, v32, v34
	v_fmamk_f16 v34, v13, 0xbbeb, v48
	v_fma_f16 v30, v47, 0xb08e, -v30
	v_fmac_f16_e32 v48, 0x3beb, v13
	v_add_f16_e32 v33, v33, v35
	v_mul_f16_e32 v35, 0x3853, v45
	v_add_f16_e32 v34, v34, v43
	v_fmamk_f16 v43, v13, 0xb853, v14
	v_add_f16_e32 v30, v30, v36
	v_add_f16_e32 v36, v48, v37
	v_sub_f16_e32 v37, v22, v3
	v_add_f16_e32 v3, v22, v3
	v_add_f16_e32 v32, v46, v41
	v_fmamk_f16 v41, v47, 0x3abb, v35
	v_add_f16_e32 v23, v43, v23
	v_add_f16_e32 v43, v27, v10
	v_mul_f16_e32 v22, 0xbbeb, v37
	v_fma_f16 v35, v47, 0x3abb, -v35
	v_fmac_f16_e32 v14, 0x3853, v13
	v_sub_f16_e32 v10, v27, v10
	v_mul_f16_e32 v13, 0xb08e, v3
	v_fmamk_f16 v27, v43, 0xb08e, v22
	v_add_f16_e32 v16, v35, v16
	v_add_f16_e32 v8, v14, v8
	v_mul_f16_e32 v14, 0x3482, v37
	v_fmamk_f16 v35, v10, 0x3beb, v13
	v_add_f16_e32 v18, v27, v18
	v_fma_f16 v22, v43, 0xb08e, -v22
	v_fmac_f16_e32 v13, 0xbbeb, v10
	v_fmamk_f16 v27, v43, 0xbbad, v14
	v_add_f16_e32 v12, v35, v12
	v_mul_f16_e32 v35, 0xbbad, v3
	v_add_f16_e32 v20, v22, v20
	v_add_f16_e32 v13, v13, v21
	;; [unrolled: 1-line block ×3, first 2 shown]
	v_mul_f16_e32 v21, 0x3b47, v37
	v_fmamk_f16 v22, v10, 0xb482, v35
	v_mul_f16_e32 v27, 0x36a6, v3
	v_add_f16_e32 v41, v41, v44
	v_fma_f16 v14, v43, 0xbbad, -v14
	v_fmac_f16_e32 v35, 0x3482, v10
	v_fmamk_f16 v44, v43, 0x36a6, v21
	v_add_f16_e32 v22, v22, v24
	v_fmamk_f16 v24, v10, 0xbb47, v27
	v_add_f16_e32 v14, v14, v15
	v_add_f16_e32 v15, v35, v25
	;; [unrolled: 1-line block ×3, first 2 shown]
	v_mul_f16_e32 v29, 0xb853, v37
	v_fma_f16 v21, v43, 0x36a6, -v21
	v_fmac_f16_e32 v27, 0x3b47, v10
	v_add_f16_e32 v24, v24, v33
	v_mul_f16_e32 v33, 0x3abb, v3
	v_fmamk_f16 v35, v43, 0x3abb, v29
	v_add_f16_e32 v21, v21, v26
	v_add_f16_e32 v26, v27, v31
	v_mul_f16_e32 v27, 0xba0c, v37
	v_fmamk_f16 v31, v10, 0x3853, v33
	v_add_f16_e32 v32, v35, v32
	v_fma_f16 v29, v43, 0x3abb, -v29
	v_fmac_f16_e32 v33, 0xb853, v10
	v_fmamk_f16 v35, v43, 0xb93d, v27
	v_add_f16_e32 v31, v31, v34
	v_mul_f16_e32 v3, 0xb93d, v3
	v_sub_f16_e32 v34, v5, v2
	v_add_f16_e32 v2, v5, v2
	v_add_f16_e32 v29, v29, v30
	;; [unrolled: 1-line block ×4, first 2 shown]
	v_fmamk_f16 v35, v10, 0x3a0c, v3
	v_fma_f16 v27, v43, 0xb93d, -v27
	v_add_f16_e32 v5, v28, v11
	v_mul_f16_e32 v36, 0xba0c, v34
	v_fmac_f16_e32 v3, 0xba0c, v10
	v_sub_f16_e32 v10, v28, v11
	v_mul_f16_e32 v11, 0xb93d, v2
	v_add_f16_e32 v16, v27, v16
	v_fmamk_f16 v28, v5, 0xb93d, v36
	v_add_f16_e32 v3, v3, v8
	v_mul_f16_e32 v27, 0x3beb, v34
	v_fmamk_f16 v8, v10, 0x3a0c, v11
	v_fmac_f16_e32 v11, 0xba0c, v10
	v_add_f16_e32 v23, v35, v23
	v_add_f16_e32 v18, v28, v18
	v_fma_f16 v28, v5, 0xb93d, -v36
	v_add_f16_e32 v8, v8, v12
	v_fmamk_f16 v12, v5, 0xb08e, v27
	v_mul_f16_e32 v35, 0xb08e, v2
	v_add_f16_e32 v11, v11, v13
	v_mul_f16_e32 v13, 0xb853, v34
	v_add_f16_e32 v20, v28, v20
	v_add_f16_e32 v12, v12, v19
	v_fmamk_f16 v19, v10, 0xbbeb, v35
	v_fma_f16 v27, v5, 0xb08e, -v27
	v_fmamk_f16 v28, v5, 0x3abb, v13
	v_mul_f16_e32 v36, 0x3abb, v2
	v_fma_f16 v13, v5, 0x3abb, -v13
	v_add_f16_e32 v19, v19, v22
	v_add_f16_e32 v14, v27, v14
	;; [unrolled: 1-line block ×3, first 2 shown]
	v_fmamk_f16 v25, v10, 0x3853, v36
	v_mul_f16_e32 v27, 0xb482, v34
	v_mul_f16_e32 v28, 0xbbad, v2
	v_add_f16_e32 v13, v13, v21
	v_mul_f16_e32 v34, 0x3b47, v34
	v_add_f16_e32 v24, v25, v24
	v_fmamk_f16 v25, v5, 0xbbad, v27
	v_fmamk_f16 v21, v10, 0x3482, v28
	v_fma_f16 v27, v5, 0xbbad, -v27
	v_fmac_f16_e32 v28, 0xb482, v10
	v_mul_f16_e32 v2, 0x36a6, v2
	v_add_f16_e32 v25, v25, v32
	v_add_f16_e32 v21, v21, v31
	v_fmamk_f16 v31, v5, 0x36a6, v34
	v_add_f16_e32 v27, v27, v29
	v_sub_f16_e32 v29, v0, v1
	v_add_f16_e32 v28, v28, v30
	v_add_f16_e32 v32, v4, v9
	;; [unrolled: 1-line block ×4, first 2 shown]
	v_mul_f16_e32 v33, 0xb482, v29
	v_fmamk_f16 v31, v10, 0xbb47, v2
	v_fma_f16 v1, v5, 0x36a6, -v34
	v_fmac_f16_e32 v2, 0x3b47, v10
	v_sub_f16_e32 v4, v4, v9
	v_fmamk_f16 v5, v32, 0xbbad, v33
	v_mul_f16_e32 v9, 0xbbad, v0
	v_add_f16_e32 v1, v1, v16
	v_add_f16_e32 v2, v2, v3
	v_mul_f16_e32 v16, 0x3853, v29
	v_add_f16_e32 v3, v5, v18
	v_fmamk_f16 v5, v4, 0x3482, v9
	v_fmac_f16_e32 v35, 0x3beb, v10
	v_fmac_f16_e32 v36, 0xb853, v10
	v_add_f16_e32 v10, v31, v23
	v_fma_f16 v18, v32, 0xbbad, -v33
	v_fmac_f16_e32 v9, 0xb482, v4
	v_mul_f16_e32 v23, 0x3abb, v0
	v_add_f16_e32 v5, v5, v8
	v_fmamk_f16 v8, v32, 0x3abb, v16
	v_add_f16_e32 v18, v18, v20
	v_add_f16_e32 v9, v9, v11
	v_fmamk_f16 v11, v4, 0xb853, v23
	v_mul_f16_e32 v20, 0xba0c, v29
	v_add_f16_e32 v15, v35, v15
	v_add_f16_e32 v8, v8, v12
	v_fma_f16 v12, v32, 0x3abb, -v16
	v_fmac_f16_e32 v23, 0x3853, v4
	v_add_f16_e32 v11, v11, v19
	v_fmamk_f16 v16, v32, 0xb93d, v20
	v_mul_f16_e32 v19, 0xb93d, v0
	v_add_f16_e32 v12, v12, v14
	v_add_f16_e32 v14, v23, v15
	v_mul_f16_e32 v15, 0x3b47, v29
	v_add_f16_e32 v16, v16, v22
	v_fmamk_f16 v22, v4, 0x3a0c, v19
	v_fma_f16 v20, v32, 0xb93d, -v20
	v_mul_f16_e32 v31, 0x36a6, v0
	v_fmamk_f16 v23, v32, 0x36a6, v15
	v_add_f16_e32 v26, v36, v26
	v_fmac_f16_e32 v19, 0xba0c, v4
	v_add_f16_e32 v22, v22, v24
	v_mul_f16_e32 v24, 0xbbeb, v29
	v_mul_f16_e32 v0, 0xb08e, v0
	v_add_f16_e32 v13, v20, v13
	v_add_f16_e32 v20, v23, v25
	v_fmamk_f16 v23, v4, 0xbb47, v31
	v_add_f16_e32 v19, v19, v26
	v_fmamk_f16 v25, v32, 0xb08e, v24
	v_fmamk_f16 v26, v4, 0x3beb, v0
	v_fma_f16 v24, v32, 0xb08e, -v24
	v_fmac_f16_e32 v0, 0xbbeb, v4
	v_fma_f16 v15, v32, 0x36a6, -v15
	v_fmac_f16_e32 v31, 0x3b47, v4
	v_pack_b32_f16 v4, v6, v7
	v_add_f16_e32 v21, v23, v21
	v_add_f16_e32 v6, v25, v30
	;; [unrolled: 1-line block ×7, first 2 shown]
	ds_write_b32 v42, v4
	v_pack_b32_f16 v10, v3, v5
	v_pack_b32_f16 v8, v8, v11
	v_add_nc_u32_e32 v5, 0x200, v42
	v_add_nc_u32_e32 v4, 0x400, v42
	;; [unrolled: 1-line block ×4, first 2 shown]
	v_pack_b32_f16 v11, v16, v22
	v_pack_b32_f16 v16, v20, v21
	;; [unrolled: 1-line block ×8, first 2 shown]
	ds_write2_b32 v42, v10, v8 offset0:68 offset1:136
	ds_write2_b32 v5, v11, v16 offset0:76 offset1:144
	;; [unrolled: 1-line block ×5, first 2 shown]
	s_waitcnt lgkmcnt(0)
	s_barrier
	buffer_gl0_inv
	s_and_b32 exec_lo, exec_lo, vcc_lo
	s_cbranch_execz .LBB0_23
; %bb.22:
	global_load_dword v0, v39, s[12:13]
	ds_read_b32 v1, v42
	s_mov_b32 s8, 0xb8d015e7
	s_mov_b32 s9, 0x3f55e75b
	v_mad_u64_u32 v[10:11], null, s4, v40, 0
	s_mul_hi_u32 s3, s4, 0xb0
	s_waitcnt lgkmcnt(0)
	v_lshrrev_b32_e32 v6, 16, v1
	s_waitcnt vmcnt(0)
	v_mul_f16_sdwa v7, v6, v0 dst_sel:DWORD dst_unused:UNUSED_PAD src0_sel:DWORD src1_sel:WORD_1
	v_mul_f16_sdwa v8, v1, v0 dst_sel:DWORD dst_unused:UNUSED_PAD src0_sel:DWORD src1_sel:WORD_1
	v_fmac_f16_e32 v7, v1, v0
	v_fma_f16 v0, v0, v6, -v8
	v_mad_u64_u32 v[8:9], null, s6, v17, 0
	s_mul_i32 s6, s4, 0xb0
	v_cvt_f32_f16_e32 v1, v7
	v_cvt_f32_f16_e32 v6, v0
	v_cvt_f64_f32_e32 v[0:1], v1
	v_cvt_f64_f32_e32 v[6:7], v6
	v_mul_f64 v[0:1], v[0:1], s[8:9]
	v_mul_f64 v[6:7], v[6:7], s[8:9]
	v_and_or_b32 v0, 0x1ff, v1, v0
	v_and_or_b32 v6, 0x1ff, v7, v6
	v_lshrrev_b32_e32 v12, 8, v1
	v_bfe_u32 v14, v1, 20, 11
	v_bfe_u32 v15, v7, 20, 11
	v_cmp_ne_u32_e32 vcc_lo, 0, v0
	v_lshrrev_b32_e32 v13, 8, v7
	v_mov_b32_e32 v0, v11
	v_sub_nc_u32_e32 v18, 0x3f1, v14
	v_sub_nc_u32_e32 v19, 0x3f1, v15
	v_cndmask_b32_e64 v16, 0, 1, vcc_lo
	v_cmp_ne_u32_e32 vcc_lo, 0, v6
	v_add_nc_u32_e32 v14, 0xfffffc10, v14
	v_add_nc_u32_e32 v15, 0xfffffc10, v15
	v_lshrrev_b32_e32 v7, 16, v7
	v_and_or_b32 v16, 0xffe, v12, v16
	v_cndmask_b32_e64 v6, 0, 1, vcc_lo
	v_mad_u64_u32 v[11:12], null, s7, v17, v[9:10]
	v_med3_i32 v17, v18, 0, 13
	v_med3_i32 v18, v19, 0, 13
	v_and_or_b32 v6, 0xffe, v13, v6
	v_or_b32_e32 v19, 0x1000, v16
	v_mad_u64_u32 v[12:13], null, s5, v40, v[0:1]
	v_mov_b32_e32 v9, v11
	v_or_b32_e32 v20, 0x1000, v6
	v_lshrrev_b32_e32 v0, v17, v19
	v_lshrrev_b32_e32 v1, 16, v1
	v_lshlrev_b64 v[8:9], 2, v[8:9]
	v_lshrrev_b32_e32 v13, v18, v20
	v_lshlrev_b32_e32 v17, v17, v0
	v_mov_b32_e32 v11, v12
	v_lshlrev_b32_e32 v12, v18, v13
	v_cmp_ne_u32_e32 vcc_lo, v17, v19
	v_lshl_or_b32 v18, v14, 12, v16
	v_lshlrev_b64 v[10:11], 2, v[10:11]
	v_cndmask_b32_e64 v17, 0, 1, vcc_lo
	v_cmp_ne_u32_e32 vcc_lo, v12, v20
	v_or_b32_e32 v0, v0, v17
	v_cndmask_b32_e64 v12, 0, 1, vcc_lo
	v_cmp_gt_i32_e32 vcc_lo, 1, v14
	v_lshl_or_b32 v17, v15, 12, v6
	v_or_b32_e32 v12, v13, v12
	v_cndmask_b32_e32 v0, v18, v0, vcc_lo
	v_cmp_gt_i32_e32 vcc_lo, 1, v15
	v_cndmask_b32_e32 v12, v17, v12, vcc_lo
	v_cmp_ne_u32_e32 vcc_lo, 0, v16
	v_and_b32_e32 v16, 7, v0
	v_lshrrev_b32_e32 v0, 2, v0
	v_and_b32_e32 v17, 7, v12
	v_cndmask_b32_e64 v13, 0, 1, vcc_lo
	v_cmp_ne_u32_e32 vcc_lo, 0, v6
	v_cmp_eq_u32_e64 s0, 3, v16
	v_lshrrev_b32_e32 v12, 2, v12
	v_cmp_lt_i32_e64 s1, 5, v17
	v_cmp_eq_u32_e64 s2, 3, v17
	v_cndmask_b32_e64 v6, 0, 1, vcc_lo
	v_cmp_lt_i32_e32 vcc_lo, 5, v16
	v_lshl_or_b32 v13, v13, 9, 0x7c00
	v_lshl_or_b32 v6, v6, 9, 0x7c00
	s_or_b32 vcc_lo, s0, vcc_lo
	v_add_co_ci_u32_e32 v0, vcc_lo, 0, v0, vcc_lo
	s_or_b32 vcc_lo, s2, s1
	v_add_co_ci_u32_e32 v12, vcc_lo, 0, v12, vcc_lo
	v_cmp_gt_i32_e32 vcc_lo, 31, v14
	v_cndmask_b32_e32 v0, 0x7c00, v0, vcc_lo
	v_cmp_gt_i32_e32 vcc_lo, 31, v15
	v_cndmask_b32_e32 v12, 0x7c00, v12, vcc_lo
	v_cmp_eq_u32_e32 vcc_lo, 0x40f, v14
	v_cndmask_b32_e32 v0, v0, v13, vcc_lo
	v_cmp_eq_u32_e32 vcc_lo, 0x40f, v15
	v_cndmask_b32_e32 v6, v12, v6, vcc_lo
	v_and_or_b32 v12, 0x8000, v1, v0
	v_add_co_u32 v0, vcc_lo, s14, v8
	v_add_co_ci_u32_e32 v1, vcc_lo, s15, v9, vcc_lo
	v_and_or_b32 v8, 0x8000, v7, v6
	v_and_b32_e32 v9, 0xffff, v12
	v_add_co_u32 v6, vcc_lo, v0, v10
	v_add_co_ci_u32_e32 v7, vcc_lo, v1, v11, vcc_lo
	v_lshl_or_b32 v8, v8, 16, v9
	global_store_dword v[6:7], v8, off
	global_load_dword v10, v39, s[12:13] offset:176
	ds_read2_b32 v[8:9], v42 offset0:44 offset1:88
	s_waitcnt lgkmcnt(0)
	v_lshrrev_b32_e32 v11, 16, v8
	s_waitcnt vmcnt(0)
	v_mul_f16_sdwa v12, v11, v10 dst_sel:DWORD dst_unused:UNUSED_PAD src0_sel:DWORD src1_sel:WORD_1
	v_mul_f16_sdwa v13, v8, v10 dst_sel:DWORD dst_unused:UNUSED_PAD src0_sel:DWORD src1_sel:WORD_1
	v_fmac_f16_e32 v12, v8, v10
	v_fma_f16 v8, v10, v11, -v13
	v_cvt_f32_f16_e32 v10, v12
	v_cvt_f32_f16_e32 v8, v8
	v_cvt_f64_f32_e32 v[10:11], v10
	v_cvt_f64_f32_e32 v[12:13], v8
	v_mul_f64 v[10:11], v[10:11], s[8:9]
	v_mul_f64 v[12:13], v[12:13], s[8:9]
	v_and_or_b32 v8, 0x1ff, v11, v10
	v_and_or_b32 v12, 0x1ff, v13, v12
	v_lshrrev_b32_e32 v10, 8, v11
	v_bfe_u32 v14, v11, 20, 11
	v_lshrrev_b32_e32 v15, 8, v13
	v_cmp_ne_u32_e32 vcc_lo, 0, v8
	v_bfe_u32 v16, v13, 20, 11
	v_lshrrev_b32_e32 v11, 16, v11
	v_sub_nc_u32_e32 v17, 0x3f1, v14
	v_add_nc_u32_e32 v14, 0xfffffc10, v14
	v_cndmask_b32_e64 v8, 0, 1, vcc_lo
	v_cmp_ne_u32_e32 vcc_lo, 0, v12
	v_lshrrev_b32_e32 v13, 16, v13
	v_and_or_b32 v8, 0xffe, v10, v8
	v_cndmask_b32_e64 v12, 0, 1, vcc_lo
	v_sub_nc_u32_e32 v10, 0x3f1, v16
	v_add_nc_u32_e32 v16, 0xfffffc10, v16
	v_and_or_b32 v12, 0xffe, v15, v12
	v_med3_i32 v15, v17, 0, 13
	v_or_b32_e32 v17, 0x1000, v8
	v_med3_i32 v10, v10, 0, 13
	v_or_b32_e32 v18, 0x1000, v12
	v_lshrrev_b32_e32 v19, v15, v17
	v_lshrrev_b32_e32 v20, v10, v18
	v_lshlrev_b32_e32 v15, v15, v19
	v_lshlrev_b32_e32 v10, v10, v20
	v_cmp_ne_u32_e32 vcc_lo, v15, v17
	v_lshl_or_b32 v17, v14, 12, v8
	v_cndmask_b32_e64 v15, 0, 1, vcc_lo
	v_cmp_ne_u32_e32 vcc_lo, v10, v18
	v_lshl_or_b32 v18, v16, 12, v12
	v_or_b32_e32 v15, v19, v15
	v_cndmask_b32_e64 v10, 0, 1, vcc_lo
	v_cmp_gt_i32_e32 vcc_lo, 1, v14
	v_or_b32_e32 v10, v20, v10
	v_cndmask_b32_e32 v15, v17, v15, vcc_lo
	v_cmp_gt_i32_e32 vcc_lo, 1, v16
	v_and_b32_e32 v17, 7, v15
	v_cndmask_b32_e32 v10, v18, v10, vcc_lo
	v_cmp_ne_u32_e32 vcc_lo, 0, v8
	v_lshrrev_b32_e32 v15, 2, v15
	v_cmp_eq_u32_e64 s0, 3, v17
	v_and_b32_e32 v18, 7, v10
	v_cndmask_b32_e64 v8, 0, 1, vcc_lo
	v_cmp_ne_u32_e32 vcc_lo, 0, v12
	v_lshrrev_b32_e32 v10, 2, v10
	v_cmp_lt_i32_e64 s1, 5, v18
	v_cmp_eq_u32_e64 s2, 3, v18
	v_cndmask_b32_e64 v12, 0, 1, vcc_lo
	v_cmp_lt_i32_e32 vcc_lo, 5, v17
	v_lshl_or_b32 v8, v8, 9, 0x7c00
	v_lshl_or_b32 v12, v12, 9, 0x7c00
	s_or_b32 vcc_lo, s0, vcc_lo
	s_mul_i32 s0, s5, 0xb0
	v_add_co_ci_u32_e32 v15, vcc_lo, 0, v15, vcc_lo
	s_or_b32 vcc_lo, s2, s1
	s_add_i32 s3, s3, s0
	v_add_co_ci_u32_e32 v10, vcc_lo, 0, v10, vcc_lo
	v_cmp_gt_i32_e32 vcc_lo, 31, v14
	v_cndmask_b32_e32 v15, 0x7c00, v15, vcc_lo
	v_cmp_gt_i32_e32 vcc_lo, 31, v16
	v_cndmask_b32_e32 v10, 0x7c00, v10, vcc_lo
	v_cmp_eq_u32_e32 vcc_lo, 0x40f, v14
	v_cndmask_b32_e32 v8, v15, v8, vcc_lo
	v_cmp_eq_u32_e32 vcc_lo, 0x40f, v16
	v_and_or_b32 v8, 0x8000, v11, v8
	v_cndmask_b32_e32 v10, v10, v12, vcc_lo
	v_add_co_u32 v6, vcc_lo, v6, s6
	v_add_co_ci_u32_e32 v7, vcc_lo, s3, v7, vcc_lo
	v_and_or_b32 v10, 0x8000, v13, v10
	v_and_b32_e32 v8, 0xffff, v8
	v_lshl_or_b32 v8, v10, 16, v8
	v_lshrrev_b32_e32 v10, 16, v9
	global_store_dword v[6:7], v8, off
	global_load_dword v8, v39, s[12:13] offset:352
	s_waitcnt vmcnt(0)
	v_mul_f16_sdwa v11, v10, v8 dst_sel:DWORD dst_unused:UNUSED_PAD src0_sel:DWORD src1_sel:WORD_1
	v_mul_f16_sdwa v12, v9, v8 dst_sel:DWORD dst_unused:UNUSED_PAD src0_sel:DWORD src1_sel:WORD_1
	v_fmac_f16_e32 v11, v9, v8
	v_fma_f16 v8, v8, v10, -v12
	v_cvt_f32_f16_e32 v9, v11
	v_cvt_f32_f16_e32 v10, v8
	v_cvt_f64_f32_e32 v[8:9], v9
	v_cvt_f64_f32_e32 v[10:11], v10
	v_mul_f64 v[8:9], v[8:9], s[8:9]
	v_mul_f64 v[10:11], v[10:11], s[8:9]
	v_and_or_b32 v8, 0x1ff, v9, v8
	v_and_or_b32 v10, 0x1ff, v11, v10
	v_lshrrev_b32_e32 v12, 8, v9
	v_bfe_u32 v13, v9, 20, 11
	v_lshrrev_b32_e32 v14, 8, v11
	v_cmp_ne_u32_e32 vcc_lo, 0, v8
	v_bfe_u32 v15, v11, 20, 11
	v_lshrrev_b32_e32 v9, 16, v9
	v_sub_nc_u32_e32 v16, 0x3f1, v13
	v_add_nc_u32_e32 v13, 0xfffffc10, v13
	v_cndmask_b32_e64 v8, 0, 1, vcc_lo
	v_cmp_ne_u32_e32 vcc_lo, 0, v10
	v_lshrrev_b32_e32 v11, 16, v11
	v_and_or_b32 v8, 0xffe, v12, v8
	v_cndmask_b32_e64 v10, 0, 1, vcc_lo
	v_sub_nc_u32_e32 v12, 0x3f1, v15
	v_add_nc_u32_e32 v15, 0xfffffc10, v15
	v_and_or_b32 v10, 0xffe, v14, v10
	v_med3_i32 v14, v16, 0, 13
	v_or_b32_e32 v16, 0x1000, v8
	v_med3_i32 v12, v12, 0, 13
	v_or_b32_e32 v17, 0x1000, v10
	v_lshrrev_b32_e32 v18, v14, v16
	v_lshrrev_b32_e32 v19, v12, v17
	v_lshlrev_b32_e32 v14, v14, v18
	v_lshlrev_b32_e32 v12, v12, v19
	v_cmp_ne_u32_e32 vcc_lo, v14, v16
	v_lshl_or_b32 v16, v13, 12, v8
	v_cndmask_b32_e64 v14, 0, 1, vcc_lo
	v_cmp_ne_u32_e32 vcc_lo, v12, v17
	v_lshl_or_b32 v17, v15, 12, v10
	v_or_b32_e32 v14, v18, v14
	v_cndmask_b32_e64 v12, 0, 1, vcc_lo
	v_cmp_gt_i32_e32 vcc_lo, 1, v13
	v_or_b32_e32 v12, v19, v12
	v_cndmask_b32_e32 v14, v16, v14, vcc_lo
	v_cmp_gt_i32_e32 vcc_lo, 1, v15
	v_and_b32_e32 v16, 7, v14
	v_cndmask_b32_e32 v12, v17, v12, vcc_lo
	v_cmp_ne_u32_e32 vcc_lo, 0, v8
	v_lshrrev_b32_e32 v14, 2, v14
	v_cmp_eq_u32_e64 s0, 3, v16
	v_and_b32_e32 v17, 7, v12
	v_cndmask_b32_e64 v8, 0, 1, vcc_lo
	v_cmp_ne_u32_e32 vcc_lo, 0, v10
	v_lshrrev_b32_e32 v12, 2, v12
	v_cmp_lt_i32_e64 s1, 5, v17
	v_cmp_eq_u32_e64 s2, 3, v17
	v_cndmask_b32_e64 v10, 0, 1, vcc_lo
	v_cmp_lt_i32_e32 vcc_lo, 5, v16
	v_lshl_or_b32 v8, v8, 9, 0x7c00
	v_lshl_or_b32 v10, v10, 9, 0x7c00
	s_or_b32 vcc_lo, s0, vcc_lo
	v_add_co_ci_u32_e32 v14, vcc_lo, 0, v14, vcc_lo
	s_or_b32 vcc_lo, s2, s1
	v_add_co_ci_u32_e32 v12, vcc_lo, 0, v12, vcc_lo
	v_cmp_gt_i32_e32 vcc_lo, 31, v13
	v_cndmask_b32_e32 v14, 0x7c00, v14, vcc_lo
	v_cmp_gt_i32_e32 vcc_lo, 31, v15
	v_cndmask_b32_e32 v12, 0x7c00, v12, vcc_lo
	v_cmp_eq_u32_e32 vcc_lo, 0x40f, v13
	v_cndmask_b32_e32 v8, v14, v8, vcc_lo
	v_cmp_eq_u32_e32 vcc_lo, 0x40f, v15
	v_and_or_b32 v8, 0x8000, v9, v8
	v_cndmask_b32_e32 v10, v12, v10, vcc_lo
	v_add_co_u32 v6, vcc_lo, v6, s6
	v_add_co_ci_u32_e32 v7, vcc_lo, s3, v7, vcc_lo
	v_and_or_b32 v9, 0x8000, v11, v10
	v_and_b32_e32 v8, 0xffff, v8
	v_lshl_or_b32 v8, v9, 16, v8
	global_store_dword v[6:7], v8, off
	global_load_dword v10, v39, s[12:13] offset:528
	ds_read2_b32 v[8:9], v42 offset0:132 offset1:176
	s_waitcnt lgkmcnt(0)
	v_lshrrev_b32_e32 v11, 16, v8
	s_waitcnt vmcnt(0)
	v_mul_f16_sdwa v12, v11, v10 dst_sel:DWORD dst_unused:UNUSED_PAD src0_sel:DWORD src1_sel:WORD_1
	v_mul_f16_sdwa v13, v8, v10 dst_sel:DWORD dst_unused:UNUSED_PAD src0_sel:DWORD src1_sel:WORD_1
	v_fmac_f16_e32 v12, v8, v10
	v_fma_f16 v8, v10, v11, -v13
	v_cvt_f32_f16_e32 v10, v12
	v_cvt_f32_f16_e32 v8, v8
	v_cvt_f64_f32_e32 v[10:11], v10
	v_cvt_f64_f32_e32 v[12:13], v8
	v_mul_f64 v[10:11], v[10:11], s[8:9]
	v_mul_f64 v[12:13], v[12:13], s[8:9]
	v_and_or_b32 v8, 0x1ff, v11, v10
	v_and_or_b32 v12, 0x1ff, v13, v12
	v_lshrrev_b32_e32 v10, 8, v11
	v_bfe_u32 v14, v11, 20, 11
	v_lshrrev_b32_e32 v15, 8, v13
	v_cmp_ne_u32_e32 vcc_lo, 0, v8
	v_bfe_u32 v16, v13, 20, 11
	v_lshrrev_b32_e32 v11, 16, v11
	v_sub_nc_u32_e32 v17, 0x3f1, v14
	v_add_nc_u32_e32 v14, 0xfffffc10, v14
	v_cndmask_b32_e64 v8, 0, 1, vcc_lo
	v_cmp_ne_u32_e32 vcc_lo, 0, v12
	v_lshrrev_b32_e32 v13, 16, v13
	v_and_or_b32 v8, 0xffe, v10, v8
	v_cndmask_b32_e64 v12, 0, 1, vcc_lo
	v_sub_nc_u32_e32 v10, 0x3f1, v16
	v_add_nc_u32_e32 v16, 0xfffffc10, v16
	v_and_or_b32 v12, 0xffe, v15, v12
	v_med3_i32 v15, v17, 0, 13
	v_or_b32_e32 v17, 0x1000, v8
	v_med3_i32 v10, v10, 0, 13
	v_or_b32_e32 v18, 0x1000, v12
	v_lshrrev_b32_e32 v19, v15, v17
	v_lshrrev_b32_e32 v20, v10, v18
	v_lshlrev_b32_e32 v15, v15, v19
	v_lshlrev_b32_e32 v10, v10, v20
	v_cmp_ne_u32_e32 vcc_lo, v15, v17
	v_lshl_or_b32 v17, v14, 12, v8
	v_cndmask_b32_e64 v15, 0, 1, vcc_lo
	v_cmp_ne_u32_e32 vcc_lo, v10, v18
	v_lshl_or_b32 v18, v16, 12, v12
	v_or_b32_e32 v15, v19, v15
	v_cndmask_b32_e64 v10, 0, 1, vcc_lo
	v_cmp_gt_i32_e32 vcc_lo, 1, v14
	v_or_b32_e32 v10, v20, v10
	v_cndmask_b32_e32 v15, v17, v15, vcc_lo
	v_cmp_gt_i32_e32 vcc_lo, 1, v16
	v_and_b32_e32 v17, 7, v15
	v_cndmask_b32_e32 v10, v18, v10, vcc_lo
	v_cmp_ne_u32_e32 vcc_lo, 0, v8
	v_lshrrev_b32_e32 v15, 2, v15
	v_cmp_eq_u32_e64 s0, 3, v17
	v_and_b32_e32 v18, 7, v10
	v_cndmask_b32_e64 v8, 0, 1, vcc_lo
	v_cmp_ne_u32_e32 vcc_lo, 0, v12
	v_lshrrev_b32_e32 v10, 2, v10
	v_cmp_lt_i32_e64 s1, 5, v18
	v_cmp_eq_u32_e64 s2, 3, v18
	v_cndmask_b32_e64 v12, 0, 1, vcc_lo
	v_cmp_lt_i32_e32 vcc_lo, 5, v17
	v_lshl_or_b32 v8, v8, 9, 0x7c00
	v_lshl_or_b32 v12, v12, 9, 0x7c00
	s_or_b32 vcc_lo, s0, vcc_lo
	v_add_co_ci_u32_e32 v15, vcc_lo, 0, v15, vcc_lo
	s_or_b32 vcc_lo, s2, s1
	v_add_co_ci_u32_e32 v10, vcc_lo, 0, v10, vcc_lo
	v_cmp_gt_i32_e32 vcc_lo, 31, v14
	v_cndmask_b32_e32 v15, 0x7c00, v15, vcc_lo
	v_cmp_gt_i32_e32 vcc_lo, 31, v16
	v_cndmask_b32_e32 v10, 0x7c00, v10, vcc_lo
	v_cmp_eq_u32_e32 vcc_lo, 0x40f, v14
	v_cndmask_b32_e32 v8, v15, v8, vcc_lo
	v_cmp_eq_u32_e32 vcc_lo, 0x40f, v16
	v_and_or_b32 v8, 0x8000, v11, v8
	v_cndmask_b32_e32 v10, v10, v12, vcc_lo
	v_add_co_u32 v6, vcc_lo, v6, s6
	v_add_co_ci_u32_e32 v7, vcc_lo, s3, v7, vcc_lo
	v_and_or_b32 v10, 0x8000, v13, v10
	v_and_b32_e32 v8, 0xffff, v8
	v_lshl_or_b32 v8, v10, 16, v8
	v_lshrrev_b32_e32 v10, 16, v9
	global_store_dword v[6:7], v8, off
	global_load_dword v8, v39, s[12:13] offset:704
	s_waitcnt vmcnt(0)
	v_mul_f16_sdwa v11, v10, v8 dst_sel:DWORD dst_unused:UNUSED_PAD src0_sel:DWORD src1_sel:WORD_1
	v_mul_f16_sdwa v12, v9, v8 dst_sel:DWORD dst_unused:UNUSED_PAD src0_sel:DWORD src1_sel:WORD_1
	v_fmac_f16_e32 v11, v9, v8
	v_fma_f16 v8, v8, v10, -v12
	v_cvt_f32_f16_e32 v9, v11
	v_cvt_f32_f16_e32 v10, v8
	v_cvt_f64_f32_e32 v[8:9], v9
	v_cvt_f64_f32_e32 v[10:11], v10
	v_mul_f64 v[8:9], v[8:9], s[8:9]
	v_mul_f64 v[10:11], v[10:11], s[8:9]
	v_and_or_b32 v8, 0x1ff, v9, v8
	v_and_or_b32 v10, 0x1ff, v11, v10
	v_lshrrev_b32_e32 v12, 8, v9
	v_bfe_u32 v13, v9, 20, 11
	v_lshrrev_b32_e32 v14, 8, v11
	v_cmp_ne_u32_e32 vcc_lo, 0, v8
	v_bfe_u32 v15, v11, 20, 11
	v_lshrrev_b32_e32 v9, 16, v9
	v_sub_nc_u32_e32 v16, 0x3f1, v13
	v_add_nc_u32_e32 v13, 0xfffffc10, v13
	v_cndmask_b32_e64 v8, 0, 1, vcc_lo
	v_cmp_ne_u32_e32 vcc_lo, 0, v10
	v_lshrrev_b32_e32 v11, 16, v11
	v_and_or_b32 v8, 0xffe, v12, v8
	v_cndmask_b32_e64 v10, 0, 1, vcc_lo
	v_sub_nc_u32_e32 v12, 0x3f1, v15
	v_add_nc_u32_e32 v15, 0xfffffc10, v15
	v_and_or_b32 v10, 0xffe, v14, v10
	v_med3_i32 v14, v16, 0, 13
	v_or_b32_e32 v16, 0x1000, v8
	v_med3_i32 v12, v12, 0, 13
	v_or_b32_e32 v17, 0x1000, v10
	v_lshrrev_b32_e32 v18, v14, v16
	v_lshrrev_b32_e32 v19, v12, v17
	v_lshlrev_b32_e32 v14, v14, v18
	v_lshlrev_b32_e32 v12, v12, v19
	v_cmp_ne_u32_e32 vcc_lo, v14, v16
	v_lshl_or_b32 v16, v13, 12, v8
	v_cndmask_b32_e64 v14, 0, 1, vcc_lo
	v_cmp_ne_u32_e32 vcc_lo, v12, v17
	v_lshl_or_b32 v17, v15, 12, v10
	v_or_b32_e32 v14, v18, v14
	v_cndmask_b32_e64 v12, 0, 1, vcc_lo
	v_cmp_gt_i32_e32 vcc_lo, 1, v13
	v_or_b32_e32 v12, v19, v12
	v_cndmask_b32_e32 v14, v16, v14, vcc_lo
	v_cmp_gt_i32_e32 vcc_lo, 1, v15
	v_and_b32_e32 v16, 7, v14
	v_cndmask_b32_e32 v12, v17, v12, vcc_lo
	v_cmp_ne_u32_e32 vcc_lo, 0, v8
	v_lshrrev_b32_e32 v14, 2, v14
	v_cmp_eq_u32_e64 s0, 3, v16
	v_and_b32_e32 v17, 7, v12
	v_cndmask_b32_e64 v8, 0, 1, vcc_lo
	v_cmp_ne_u32_e32 vcc_lo, 0, v10
	v_lshrrev_b32_e32 v12, 2, v12
	v_cmp_lt_i32_e64 s1, 5, v17
	v_cmp_eq_u32_e64 s2, 3, v17
	v_cndmask_b32_e64 v10, 0, 1, vcc_lo
	v_cmp_lt_i32_e32 vcc_lo, 5, v16
	v_lshl_or_b32 v8, v8, 9, 0x7c00
	v_lshl_or_b32 v10, v10, 9, 0x7c00
	s_or_b32 vcc_lo, s0, vcc_lo
	v_add_co_ci_u32_e32 v14, vcc_lo, 0, v14, vcc_lo
	s_or_b32 vcc_lo, s2, s1
	v_add_co_ci_u32_e32 v12, vcc_lo, 0, v12, vcc_lo
	v_cmp_gt_i32_e32 vcc_lo, 31, v13
	v_cndmask_b32_e32 v14, 0x7c00, v14, vcc_lo
	v_cmp_gt_i32_e32 vcc_lo, 31, v15
	v_cndmask_b32_e32 v12, 0x7c00, v12, vcc_lo
	v_cmp_eq_u32_e32 vcc_lo, 0x40f, v13
	v_cndmask_b32_e32 v8, v14, v8, vcc_lo
	v_cmp_eq_u32_e32 vcc_lo, 0x40f, v15
	v_and_or_b32 v8, 0x8000, v9, v8
	v_cndmask_b32_e32 v10, v12, v10, vcc_lo
	v_add_co_u32 v6, vcc_lo, v6, s6
	v_add_co_ci_u32_e32 v7, vcc_lo, s3, v7, vcc_lo
	v_and_or_b32 v9, 0x8000, v11, v10
	v_and_b32_e32 v8, 0xffff, v8
	v_lshl_or_b32 v8, v9, 16, v8
	global_store_dword v[6:7], v8, off
	global_load_dword v10, v39, s[12:13] offset:880
	ds_read2_b32 v[8:9], v5 offset0:92 offset1:136
	s_waitcnt lgkmcnt(0)
	v_lshrrev_b32_e32 v5, 16, v8
	s_waitcnt vmcnt(0)
	v_mul_f16_sdwa v11, v5, v10 dst_sel:DWORD dst_unused:UNUSED_PAD src0_sel:DWORD src1_sel:WORD_1
	v_mul_f16_sdwa v12, v8, v10 dst_sel:DWORD dst_unused:UNUSED_PAD src0_sel:DWORD src1_sel:WORD_1
	v_fmac_f16_e32 v11, v8, v10
	v_fma_f16 v5, v10, v5, -v12
	v_cvt_f32_f16_e32 v8, v11
	v_cvt_f32_f16_e32 v5, v5
	v_cvt_f64_f32_e32 v[10:11], v8
	v_cvt_f64_f32_e32 v[12:13], v5
	v_mul_f64 v[10:11], v[10:11], s[8:9]
	v_mul_f64 v[12:13], v[12:13], s[8:9]
	v_and_or_b32 v5, 0x1ff, v11, v10
	v_and_or_b32 v12, 0x1ff, v13, v12
	v_lshrrev_b32_e32 v8, 8, v11
	v_bfe_u32 v10, v11, 20, 11
	v_lshrrev_b32_e32 v14, 8, v13
	v_cmp_ne_u32_e32 vcc_lo, 0, v5
	v_bfe_u32 v15, v13, 20, 11
	v_lshrrev_b32_e32 v11, 16, v11
	v_sub_nc_u32_e32 v16, 0x3f1, v10
	v_add_nc_u32_e32 v10, 0xfffffc10, v10
	v_cndmask_b32_e64 v5, 0, 1, vcc_lo
	v_cmp_ne_u32_e32 vcc_lo, 0, v12
	v_and_or_b32 v5, 0xffe, v8, v5
	v_cndmask_b32_e64 v12, 0, 1, vcc_lo
	v_sub_nc_u32_e32 v8, 0x3f1, v15
	v_add_nc_u32_e32 v15, 0xfffffc10, v15
	v_and_or_b32 v12, 0xffe, v14, v12
	v_med3_i32 v14, v16, 0, 13
	v_or_b32_e32 v16, 0x1000, v5
	v_med3_i32 v8, v8, 0, 13
	v_or_b32_e32 v17, 0x1000, v12
	v_lshrrev_b32_e32 v18, v14, v16
	v_lshrrev_b32_e32 v19, v8, v17
	v_lshlrev_b32_e32 v14, v14, v18
	v_lshlrev_b32_e32 v8, v8, v19
	v_cmp_ne_u32_e32 vcc_lo, v14, v16
	v_lshl_or_b32 v16, v10, 12, v5
	v_cndmask_b32_e64 v14, 0, 1, vcc_lo
	v_cmp_ne_u32_e32 vcc_lo, v8, v17
	v_lshl_or_b32 v17, v15, 12, v12
	v_or_b32_e32 v14, v18, v14
	v_cndmask_b32_e64 v8, 0, 1, vcc_lo
	v_cmp_gt_i32_e32 vcc_lo, 1, v10
	v_or_b32_e32 v8, v19, v8
	v_cndmask_b32_e32 v14, v16, v14, vcc_lo
	v_cmp_gt_i32_e32 vcc_lo, 1, v15
	v_and_b32_e32 v16, 7, v14
	v_cndmask_b32_e32 v8, v17, v8, vcc_lo
	v_cmp_ne_u32_e32 vcc_lo, 0, v5
	v_lshrrev_b32_e32 v14, 2, v14
	v_cmp_eq_u32_e64 s0, 3, v16
	v_and_b32_e32 v17, 7, v8
	v_cndmask_b32_e64 v5, 0, 1, vcc_lo
	v_cmp_ne_u32_e32 vcc_lo, 0, v12
	v_lshrrev_b32_e32 v8, 2, v8
	v_cmp_lt_i32_e64 s1, 5, v17
	v_cmp_eq_u32_e64 s2, 3, v17
	v_cndmask_b32_e64 v12, 0, 1, vcc_lo
	v_cmp_lt_i32_e32 vcc_lo, 5, v16
	v_lshl_or_b32 v5, v5, 9, 0x7c00
	v_lshl_or_b32 v12, v12, 9, 0x7c00
	s_or_b32 vcc_lo, s0, vcc_lo
	v_add_co_ci_u32_e32 v14, vcc_lo, 0, v14, vcc_lo
	s_or_b32 vcc_lo, s2, s1
	v_add_co_ci_u32_e32 v8, vcc_lo, 0, v8, vcc_lo
	v_cmp_gt_i32_e32 vcc_lo, 31, v10
	v_cndmask_b32_e32 v14, 0x7c00, v14, vcc_lo
	v_cmp_gt_i32_e32 vcc_lo, 31, v15
	v_cndmask_b32_e32 v8, 0x7c00, v8, vcc_lo
	v_cmp_eq_u32_e32 vcc_lo, 0x40f, v10
	v_lshrrev_b32_e32 v10, 16, v13
	v_cndmask_b32_e32 v5, v14, v5, vcc_lo
	v_cmp_eq_u32_e32 vcc_lo, 0x40f, v15
	v_and_or_b32 v5, 0x8000, v11, v5
	v_cndmask_b32_e32 v8, v8, v12, vcc_lo
	v_and_or_b32 v8, 0x8000, v10, v8
	v_and_b32_e32 v10, 0xffff, v5
	v_add_co_u32 v5, vcc_lo, v6, s6
	v_add_co_ci_u32_e32 v6, vcc_lo, s3, v7, vcc_lo
	v_lshl_or_b32 v7, v8, 16, v10
	v_lshrrev_b32_e32 v8, 16, v9
	global_store_dword v[5:6], v7, off
	global_load_dword v7, v39, s[12:13] offset:1056
	s_waitcnt vmcnt(0)
	v_mul_f16_sdwa v10, v8, v7 dst_sel:DWORD dst_unused:UNUSED_PAD src0_sel:DWORD src1_sel:WORD_1
	v_mul_f16_sdwa v11, v9, v7 dst_sel:DWORD dst_unused:UNUSED_PAD src0_sel:DWORD src1_sel:WORD_1
	v_fmac_f16_e32 v10, v9, v7
	v_fma_f16 v7, v7, v8, -v11
	v_cvt_f32_f16_e32 v8, v10
	v_cvt_f32_f16_e32 v9, v7
	v_cvt_f64_f32_e32 v[7:8], v8
	v_cvt_f64_f32_e32 v[9:10], v9
	v_mul_f64 v[7:8], v[7:8], s[8:9]
	v_mul_f64 v[9:10], v[9:10], s[8:9]
	v_and_or_b32 v7, 0x1ff, v8, v7
	v_and_or_b32 v9, 0x1ff, v10, v9
	v_lshrrev_b32_e32 v11, 8, v8
	v_bfe_u32 v12, v8, 20, 11
	v_lshrrev_b32_e32 v13, 8, v10
	v_cmp_ne_u32_e32 vcc_lo, 0, v7
	v_bfe_u32 v14, v10, 20, 11
	v_lshrrev_b32_e32 v8, 16, v8
	v_sub_nc_u32_e32 v15, 0x3f1, v12
	v_add_nc_u32_e32 v12, 0xfffffc10, v12
	v_cndmask_b32_e64 v7, 0, 1, vcc_lo
	v_cmp_ne_u32_e32 vcc_lo, 0, v9
	v_lshrrev_b32_e32 v10, 16, v10
	v_and_or_b32 v7, 0xffe, v11, v7
	v_cndmask_b32_e64 v9, 0, 1, vcc_lo
	v_sub_nc_u32_e32 v11, 0x3f1, v14
	v_add_nc_u32_e32 v14, 0xfffffc10, v14
	v_and_or_b32 v9, 0xffe, v13, v9
	v_med3_i32 v13, v15, 0, 13
	v_or_b32_e32 v15, 0x1000, v7
	v_med3_i32 v11, v11, 0, 13
	v_or_b32_e32 v16, 0x1000, v9
	v_lshrrev_b32_e32 v17, v13, v15
	v_lshrrev_b32_e32 v18, v11, v16
	v_lshlrev_b32_e32 v13, v13, v17
	v_lshlrev_b32_e32 v11, v11, v18
	v_cmp_ne_u32_e32 vcc_lo, v13, v15
	v_lshl_or_b32 v15, v12, 12, v7
	v_cndmask_b32_e64 v13, 0, 1, vcc_lo
	v_cmp_ne_u32_e32 vcc_lo, v11, v16
	v_lshl_or_b32 v16, v14, 12, v9
	v_or_b32_e32 v13, v17, v13
	v_cndmask_b32_e64 v11, 0, 1, vcc_lo
	v_cmp_gt_i32_e32 vcc_lo, 1, v12
	v_or_b32_e32 v11, v18, v11
	v_cndmask_b32_e32 v13, v15, v13, vcc_lo
	v_cmp_gt_i32_e32 vcc_lo, 1, v14
	v_and_b32_e32 v15, 7, v13
	v_cndmask_b32_e32 v11, v16, v11, vcc_lo
	v_cmp_ne_u32_e32 vcc_lo, 0, v7
	v_lshrrev_b32_e32 v13, 2, v13
	v_cmp_eq_u32_e64 s0, 3, v15
	v_and_b32_e32 v16, 7, v11
	v_cndmask_b32_e64 v7, 0, 1, vcc_lo
	v_cmp_ne_u32_e32 vcc_lo, 0, v9
	v_lshrrev_b32_e32 v11, 2, v11
	v_cmp_lt_i32_e64 s1, 5, v16
	v_cmp_eq_u32_e64 s2, 3, v16
	v_cndmask_b32_e64 v9, 0, 1, vcc_lo
	v_cmp_lt_i32_e32 vcc_lo, 5, v15
	v_lshl_or_b32 v7, v7, 9, 0x7c00
	v_lshl_or_b32 v9, v9, 9, 0x7c00
	s_or_b32 vcc_lo, s0, vcc_lo
	v_add_co_ci_u32_e32 v13, vcc_lo, 0, v13, vcc_lo
	s_or_b32 vcc_lo, s2, s1
	v_add_co_ci_u32_e32 v11, vcc_lo, 0, v11, vcc_lo
	v_cmp_gt_i32_e32 vcc_lo, 31, v12
	v_cndmask_b32_e32 v13, 0x7c00, v13, vcc_lo
	v_cmp_gt_i32_e32 vcc_lo, 31, v14
	v_cndmask_b32_e32 v11, 0x7c00, v11, vcc_lo
	v_cmp_eq_u32_e32 vcc_lo, 0x40f, v12
	v_cndmask_b32_e32 v7, v13, v7, vcc_lo
	v_cmp_eq_u32_e32 vcc_lo, 0x40f, v14
	v_and_or_b32 v7, 0x8000, v8, v7
	v_cndmask_b32_e32 v9, v11, v9, vcc_lo
	v_add_co_u32 v5, vcc_lo, v5, s6
	v_add_co_ci_u32_e32 v6, vcc_lo, s3, v6, vcc_lo
	v_and_or_b32 v8, 0x8000, v10, v9
	v_and_b32_e32 v7, 0xffff, v7
	v_lshl_or_b32 v7, v8, 16, v7
	global_store_dword v[5:6], v7, off
	global_load_dword v9, v39, s[12:13] offset:1232
	ds_read2_b32 v[7:8], v4 offset0:52 offset1:96
	s_waitcnt lgkmcnt(0)
	v_lshrrev_b32_e32 v10, 16, v7
	s_waitcnt vmcnt(0)
	v_mul_f16_sdwa v11, v10, v9 dst_sel:DWORD dst_unused:UNUSED_PAD src0_sel:DWORD src1_sel:WORD_1
	v_mul_f16_sdwa v12, v7, v9 dst_sel:DWORD dst_unused:UNUSED_PAD src0_sel:DWORD src1_sel:WORD_1
	v_fmac_f16_e32 v11, v7, v9
	v_fma_f16 v7, v9, v10, -v12
	v_cvt_f32_f16_e32 v9, v11
	v_cvt_f32_f16_e32 v7, v7
	v_cvt_f64_f32_e32 v[9:10], v9
	v_cvt_f64_f32_e32 v[11:12], v7
	v_mul_f64 v[9:10], v[9:10], s[8:9]
	v_mul_f64 v[11:12], v[11:12], s[8:9]
	v_and_or_b32 v7, 0x1ff, v10, v9
	v_and_or_b32 v11, 0x1ff, v12, v11
	v_lshrrev_b32_e32 v9, 8, v10
	v_bfe_u32 v13, v10, 20, 11
	v_lshrrev_b32_e32 v14, 8, v12
	v_cmp_ne_u32_e32 vcc_lo, 0, v7
	v_bfe_u32 v15, v12, 20, 11
	v_lshrrev_b32_e32 v10, 16, v10
	v_sub_nc_u32_e32 v16, 0x3f1, v13
	v_add_nc_u32_e32 v13, 0xfffffc10, v13
	v_cndmask_b32_e64 v7, 0, 1, vcc_lo
	v_cmp_ne_u32_e32 vcc_lo, 0, v11
	v_lshrrev_b32_e32 v12, 16, v12
	v_and_or_b32 v7, 0xffe, v9, v7
	v_cndmask_b32_e64 v11, 0, 1, vcc_lo
	v_sub_nc_u32_e32 v9, 0x3f1, v15
	v_add_nc_u32_e32 v15, 0xfffffc10, v15
	v_and_or_b32 v11, 0xffe, v14, v11
	v_med3_i32 v14, v16, 0, 13
	v_or_b32_e32 v16, 0x1000, v7
	v_med3_i32 v9, v9, 0, 13
	v_or_b32_e32 v17, 0x1000, v11
	v_lshrrev_b32_e32 v18, v14, v16
	v_lshrrev_b32_e32 v19, v9, v17
	v_lshlrev_b32_e32 v14, v14, v18
	v_lshlrev_b32_e32 v9, v9, v19
	v_cmp_ne_u32_e32 vcc_lo, v14, v16
	v_lshl_or_b32 v16, v13, 12, v7
	v_cndmask_b32_e64 v14, 0, 1, vcc_lo
	v_cmp_ne_u32_e32 vcc_lo, v9, v17
	v_lshl_or_b32 v17, v15, 12, v11
	v_or_b32_e32 v14, v18, v14
	v_cndmask_b32_e64 v9, 0, 1, vcc_lo
	v_cmp_gt_i32_e32 vcc_lo, 1, v13
	v_or_b32_e32 v9, v19, v9
	v_cndmask_b32_e32 v14, v16, v14, vcc_lo
	v_cmp_gt_i32_e32 vcc_lo, 1, v15
	v_and_b32_e32 v16, 7, v14
	v_cndmask_b32_e32 v9, v17, v9, vcc_lo
	v_cmp_ne_u32_e32 vcc_lo, 0, v7
	v_lshrrev_b32_e32 v14, 2, v14
	v_cmp_eq_u32_e64 s0, 3, v16
	v_and_b32_e32 v17, 7, v9
	v_cndmask_b32_e64 v7, 0, 1, vcc_lo
	v_cmp_ne_u32_e32 vcc_lo, 0, v11
	v_lshrrev_b32_e32 v9, 2, v9
	v_cmp_lt_i32_e64 s1, 5, v17
	v_cmp_eq_u32_e64 s2, 3, v17
	v_cndmask_b32_e64 v11, 0, 1, vcc_lo
	v_cmp_lt_i32_e32 vcc_lo, 5, v16
	v_lshl_or_b32 v7, v7, 9, 0x7c00
	v_lshl_or_b32 v11, v11, 9, 0x7c00
	s_or_b32 vcc_lo, s0, vcc_lo
	v_add_co_ci_u32_e32 v14, vcc_lo, 0, v14, vcc_lo
	s_or_b32 vcc_lo, s2, s1
	v_add_co_ci_u32_e32 v9, vcc_lo, 0, v9, vcc_lo
	v_cmp_gt_i32_e32 vcc_lo, 31, v13
	v_cndmask_b32_e32 v14, 0x7c00, v14, vcc_lo
	v_cmp_gt_i32_e32 vcc_lo, 31, v15
	v_cndmask_b32_e32 v9, 0x7c00, v9, vcc_lo
	v_cmp_eq_u32_e32 vcc_lo, 0x40f, v13
	v_cndmask_b32_e32 v7, v14, v7, vcc_lo
	v_cmp_eq_u32_e32 vcc_lo, 0x40f, v15
	v_and_or_b32 v7, 0x8000, v10, v7
	v_cndmask_b32_e32 v9, v9, v11, vcc_lo
	v_add_co_u32 v5, vcc_lo, v5, s6
	v_add_co_ci_u32_e32 v6, vcc_lo, s3, v6, vcc_lo
	v_and_or_b32 v9, 0x8000, v12, v9
	v_and_b32_e32 v7, 0xffff, v7
	v_lshl_or_b32 v7, v9, 16, v7
	v_lshrrev_b32_e32 v9, 16, v8
	global_store_dword v[5:6], v7, off
	global_load_dword v7, v39, s[12:13] offset:1408
	s_waitcnt vmcnt(0)
	v_mul_f16_sdwa v10, v9, v7 dst_sel:DWORD dst_unused:UNUSED_PAD src0_sel:DWORD src1_sel:WORD_1
	v_mul_f16_sdwa v11, v8, v7 dst_sel:DWORD dst_unused:UNUSED_PAD src0_sel:DWORD src1_sel:WORD_1
	v_fmac_f16_e32 v10, v8, v7
	v_fma_f16 v7, v7, v9, -v11
	v_cvt_f32_f16_e32 v8, v10
	v_cvt_f32_f16_e32 v9, v7
	v_cvt_f64_f32_e32 v[7:8], v8
	v_cvt_f64_f32_e32 v[9:10], v9
	v_mul_f64 v[7:8], v[7:8], s[8:9]
	v_mul_f64 v[9:10], v[9:10], s[8:9]
	v_and_or_b32 v7, 0x1ff, v8, v7
	v_and_or_b32 v9, 0x1ff, v10, v9
	v_lshrrev_b32_e32 v11, 8, v8
	v_bfe_u32 v12, v8, 20, 11
	v_lshrrev_b32_e32 v13, 8, v10
	v_cmp_ne_u32_e32 vcc_lo, 0, v7
	v_bfe_u32 v14, v10, 20, 11
	v_lshrrev_b32_e32 v8, 16, v8
	v_sub_nc_u32_e32 v15, 0x3f1, v12
	v_add_nc_u32_e32 v12, 0xfffffc10, v12
	v_cndmask_b32_e64 v7, 0, 1, vcc_lo
	v_cmp_ne_u32_e32 vcc_lo, 0, v9
	v_lshrrev_b32_e32 v10, 16, v10
	v_and_or_b32 v7, 0xffe, v11, v7
	v_cndmask_b32_e64 v9, 0, 1, vcc_lo
	v_sub_nc_u32_e32 v11, 0x3f1, v14
	v_add_nc_u32_e32 v14, 0xfffffc10, v14
	v_and_or_b32 v9, 0xffe, v13, v9
	v_med3_i32 v13, v15, 0, 13
	v_or_b32_e32 v15, 0x1000, v7
	v_med3_i32 v11, v11, 0, 13
	v_or_b32_e32 v16, 0x1000, v9
	v_lshrrev_b32_e32 v17, v13, v15
	v_lshrrev_b32_e32 v18, v11, v16
	v_lshlrev_b32_e32 v13, v13, v17
	v_lshlrev_b32_e32 v11, v11, v18
	v_cmp_ne_u32_e32 vcc_lo, v13, v15
	v_lshl_or_b32 v15, v12, 12, v7
	v_cndmask_b32_e64 v13, 0, 1, vcc_lo
	v_cmp_ne_u32_e32 vcc_lo, v11, v16
	v_lshl_or_b32 v16, v14, 12, v9
	v_or_b32_e32 v13, v17, v13
	v_cndmask_b32_e64 v11, 0, 1, vcc_lo
	v_cmp_gt_i32_e32 vcc_lo, 1, v12
	v_or_b32_e32 v11, v18, v11
	v_cndmask_b32_e32 v13, v15, v13, vcc_lo
	v_cmp_gt_i32_e32 vcc_lo, 1, v14
	v_and_b32_e32 v15, 7, v13
	v_cndmask_b32_e32 v11, v16, v11, vcc_lo
	v_cmp_ne_u32_e32 vcc_lo, 0, v7
	v_lshrrev_b32_e32 v13, 2, v13
	v_cmp_eq_u32_e64 s0, 3, v15
	v_and_b32_e32 v16, 7, v11
	v_cndmask_b32_e64 v7, 0, 1, vcc_lo
	v_cmp_ne_u32_e32 vcc_lo, 0, v9
	v_lshrrev_b32_e32 v11, 2, v11
	v_cmp_lt_i32_e64 s1, 5, v16
	v_cmp_eq_u32_e64 s2, 3, v16
	v_cndmask_b32_e64 v9, 0, 1, vcc_lo
	v_cmp_lt_i32_e32 vcc_lo, 5, v15
	v_lshl_or_b32 v7, v7, 9, 0x7c00
	v_lshl_or_b32 v9, v9, 9, 0x7c00
	s_or_b32 vcc_lo, s0, vcc_lo
	v_add_co_ci_u32_e32 v13, vcc_lo, 0, v13, vcc_lo
	s_or_b32 vcc_lo, s2, s1
	v_add_co_ci_u32_e32 v11, vcc_lo, 0, v11, vcc_lo
	v_cmp_gt_i32_e32 vcc_lo, 31, v12
	v_cndmask_b32_e32 v13, 0x7c00, v13, vcc_lo
	v_cmp_gt_i32_e32 vcc_lo, 31, v14
	v_cndmask_b32_e32 v11, 0x7c00, v11, vcc_lo
	v_cmp_eq_u32_e32 vcc_lo, 0x40f, v12
	v_cndmask_b32_e32 v7, v13, v7, vcc_lo
	v_cmp_eq_u32_e32 vcc_lo, 0x40f, v14
	v_and_or_b32 v7, 0x8000, v8, v7
	v_cndmask_b32_e32 v9, v11, v9, vcc_lo
	v_add_co_u32 v5, vcc_lo, v5, s6
	v_add_co_ci_u32_e32 v6, vcc_lo, s3, v6, vcc_lo
	v_and_or_b32 v8, 0x8000, v10, v9
	v_and_b32_e32 v7, 0xffff, v7
	v_lshl_or_b32 v7, v8, 16, v7
	global_store_dword v[5:6], v7, off
	global_load_dword v9, v39, s[12:13] offset:1584
	ds_read2_b32 v[7:8], v4 offset0:140 offset1:184
	s_waitcnt lgkmcnt(0)
	v_lshrrev_b32_e32 v4, 16, v7
	s_waitcnt vmcnt(0)
	v_mul_f16_sdwa v10, v4, v9 dst_sel:DWORD dst_unused:UNUSED_PAD src0_sel:DWORD src1_sel:WORD_1
	v_mul_f16_sdwa v11, v7, v9 dst_sel:DWORD dst_unused:UNUSED_PAD src0_sel:DWORD src1_sel:WORD_1
	v_fmac_f16_e32 v10, v7, v9
	v_fma_f16 v4, v9, v4, -v11
	v_cvt_f32_f16_e32 v7, v10
	v_cvt_f32_f16_e32 v4, v4
	v_cvt_f64_f32_e32 v[9:10], v7
	v_cvt_f64_f32_e32 v[11:12], v4
	v_mul_f64 v[9:10], v[9:10], s[8:9]
	v_mul_f64 v[11:12], v[11:12], s[8:9]
	v_and_or_b32 v4, 0x1ff, v10, v9
	v_and_or_b32 v11, 0x1ff, v12, v11
	v_lshrrev_b32_e32 v7, 8, v10
	v_bfe_u32 v9, v10, 20, 11
	v_lshrrev_b32_e32 v13, 8, v12
	v_cmp_ne_u32_e32 vcc_lo, 0, v4
	v_bfe_u32 v14, v12, 20, 11
	v_lshrrev_b32_e32 v10, 16, v10
	v_sub_nc_u32_e32 v15, 0x3f1, v9
	v_add_nc_u32_e32 v9, 0xfffffc10, v9
	v_cndmask_b32_e64 v4, 0, 1, vcc_lo
	v_cmp_ne_u32_e32 vcc_lo, 0, v11
	v_and_or_b32 v4, 0xffe, v7, v4
	v_cndmask_b32_e64 v11, 0, 1, vcc_lo
	v_sub_nc_u32_e32 v7, 0x3f1, v14
	v_add_nc_u32_e32 v14, 0xfffffc10, v14
	v_and_or_b32 v11, 0xffe, v13, v11
	v_med3_i32 v13, v15, 0, 13
	v_or_b32_e32 v15, 0x1000, v4
	v_med3_i32 v7, v7, 0, 13
	v_or_b32_e32 v16, 0x1000, v11
	v_lshrrev_b32_e32 v17, v13, v15
	v_lshrrev_b32_e32 v18, v7, v16
	v_lshlrev_b32_e32 v13, v13, v17
	v_lshlrev_b32_e32 v7, v7, v18
	v_cmp_ne_u32_e32 vcc_lo, v13, v15
	v_lshl_or_b32 v15, v9, 12, v4
	v_cndmask_b32_e64 v13, 0, 1, vcc_lo
	v_cmp_ne_u32_e32 vcc_lo, v7, v16
	v_lshl_or_b32 v16, v14, 12, v11
	v_or_b32_e32 v13, v17, v13
	v_cndmask_b32_e64 v7, 0, 1, vcc_lo
	v_cmp_gt_i32_e32 vcc_lo, 1, v9
	v_or_b32_e32 v7, v18, v7
	v_cndmask_b32_e32 v13, v15, v13, vcc_lo
	v_cmp_gt_i32_e32 vcc_lo, 1, v14
	v_and_b32_e32 v15, 7, v13
	v_cndmask_b32_e32 v7, v16, v7, vcc_lo
	v_cmp_ne_u32_e32 vcc_lo, 0, v4
	v_lshrrev_b32_e32 v13, 2, v13
	v_cmp_eq_u32_e64 s0, 3, v15
	v_and_b32_e32 v16, 7, v7
	v_cndmask_b32_e64 v4, 0, 1, vcc_lo
	v_cmp_ne_u32_e32 vcc_lo, 0, v11
	v_lshrrev_b32_e32 v7, 2, v7
	v_cmp_lt_i32_e64 s1, 5, v16
	v_cmp_eq_u32_e64 s2, 3, v16
	v_cndmask_b32_e64 v11, 0, 1, vcc_lo
	v_cmp_lt_i32_e32 vcc_lo, 5, v15
	v_lshl_or_b32 v4, v4, 9, 0x7c00
	v_lshl_or_b32 v11, v11, 9, 0x7c00
	s_or_b32 vcc_lo, s0, vcc_lo
	v_add_co_ci_u32_e32 v13, vcc_lo, 0, v13, vcc_lo
	s_or_b32 vcc_lo, s2, s1
	v_add_co_ci_u32_e32 v7, vcc_lo, 0, v7, vcc_lo
	v_cmp_gt_i32_e32 vcc_lo, 31, v9
	v_cndmask_b32_e32 v13, 0x7c00, v13, vcc_lo
	v_cmp_gt_i32_e32 vcc_lo, 31, v14
	v_cndmask_b32_e32 v7, 0x7c00, v7, vcc_lo
	v_cmp_eq_u32_e32 vcc_lo, 0x40f, v9
	v_lshrrev_b32_e32 v9, 16, v12
	v_cndmask_b32_e32 v4, v13, v4, vcc_lo
	v_cmp_eq_u32_e32 vcc_lo, 0x40f, v14
	v_and_or_b32 v4, 0x8000, v10, v4
	v_cndmask_b32_e32 v7, v7, v11, vcc_lo
	v_and_or_b32 v7, 0x8000, v9, v7
	v_and_b32_e32 v9, 0xffff, v4
	v_add_co_u32 v4, vcc_lo, v5, s6
	v_add_co_ci_u32_e32 v5, vcc_lo, s3, v6, vcc_lo
	v_lshl_or_b32 v6, v7, 16, v9
	v_lshrrev_b32_e32 v7, 16, v8
	global_store_dword v[4:5], v6, off
	global_load_dword v6, v39, s[12:13] offset:1760
	s_waitcnt vmcnt(0)
	v_mul_f16_sdwa v9, v7, v6 dst_sel:DWORD dst_unused:UNUSED_PAD src0_sel:DWORD src1_sel:WORD_1
	v_mul_f16_sdwa v10, v8, v6 dst_sel:DWORD dst_unused:UNUSED_PAD src0_sel:DWORD src1_sel:WORD_1
	v_fmac_f16_e32 v9, v8, v6
	v_fma_f16 v6, v6, v7, -v10
	v_cvt_f32_f16_e32 v7, v9
	v_cvt_f32_f16_e32 v8, v6
	v_cvt_f64_f32_e32 v[6:7], v7
	v_cvt_f64_f32_e32 v[8:9], v8
	v_mul_f64 v[6:7], v[6:7], s[8:9]
	v_mul_f64 v[8:9], v[8:9], s[8:9]
	v_and_or_b32 v6, 0x1ff, v7, v6
	v_and_or_b32 v8, 0x1ff, v9, v8
	v_lshrrev_b32_e32 v10, 8, v7
	v_bfe_u32 v11, v7, 20, 11
	v_lshrrev_b32_e32 v12, 8, v9
	v_cmp_ne_u32_e32 vcc_lo, 0, v6
	v_bfe_u32 v13, v9, 20, 11
	v_lshrrev_b32_e32 v7, 16, v7
	v_sub_nc_u32_e32 v14, 0x3f1, v11
	v_add_nc_u32_e32 v11, 0xfffffc10, v11
	v_cndmask_b32_e64 v6, 0, 1, vcc_lo
	v_cmp_ne_u32_e32 vcc_lo, 0, v8
	v_lshrrev_b32_e32 v9, 16, v9
	v_and_or_b32 v6, 0xffe, v10, v6
	v_cndmask_b32_e64 v8, 0, 1, vcc_lo
	v_sub_nc_u32_e32 v10, 0x3f1, v13
	v_add_nc_u32_e32 v13, 0xfffffc10, v13
	v_and_or_b32 v8, 0xffe, v12, v8
	v_med3_i32 v12, v14, 0, 13
	v_or_b32_e32 v14, 0x1000, v6
	v_med3_i32 v10, v10, 0, 13
	v_or_b32_e32 v15, 0x1000, v8
	v_lshrrev_b32_e32 v16, v12, v14
	v_lshrrev_b32_e32 v17, v10, v15
	v_lshlrev_b32_e32 v12, v12, v16
	v_lshlrev_b32_e32 v10, v10, v17
	v_cmp_ne_u32_e32 vcc_lo, v12, v14
	v_lshl_or_b32 v14, v11, 12, v6
	v_cndmask_b32_e64 v12, 0, 1, vcc_lo
	v_cmp_ne_u32_e32 vcc_lo, v10, v15
	v_lshl_or_b32 v15, v13, 12, v8
	v_or_b32_e32 v12, v16, v12
	v_cndmask_b32_e64 v10, 0, 1, vcc_lo
	v_cmp_gt_i32_e32 vcc_lo, 1, v11
	v_or_b32_e32 v10, v17, v10
	v_cndmask_b32_e32 v12, v14, v12, vcc_lo
	v_cmp_gt_i32_e32 vcc_lo, 1, v13
	v_and_b32_e32 v14, 7, v12
	v_cndmask_b32_e32 v10, v15, v10, vcc_lo
	v_cmp_ne_u32_e32 vcc_lo, 0, v6
	v_lshrrev_b32_e32 v12, 2, v12
	v_cmp_eq_u32_e64 s0, 3, v14
	v_and_b32_e32 v15, 7, v10
	v_cndmask_b32_e64 v6, 0, 1, vcc_lo
	v_cmp_ne_u32_e32 vcc_lo, 0, v8
	v_lshrrev_b32_e32 v10, 2, v10
	v_cmp_lt_i32_e64 s1, 5, v15
	v_cmp_eq_u32_e64 s2, 3, v15
	v_cndmask_b32_e64 v8, 0, 1, vcc_lo
	v_cmp_lt_i32_e32 vcc_lo, 5, v14
	v_lshl_or_b32 v6, v6, 9, 0x7c00
	v_lshl_or_b32 v8, v8, 9, 0x7c00
	s_or_b32 vcc_lo, s0, vcc_lo
	v_add_co_ci_u32_e32 v12, vcc_lo, 0, v12, vcc_lo
	s_or_b32 vcc_lo, s2, s1
	v_add_co_ci_u32_e32 v10, vcc_lo, 0, v10, vcc_lo
	v_cmp_gt_i32_e32 vcc_lo, 31, v11
	v_cndmask_b32_e32 v12, 0x7c00, v12, vcc_lo
	v_cmp_gt_i32_e32 vcc_lo, 31, v13
	v_cndmask_b32_e32 v10, 0x7c00, v10, vcc_lo
	v_cmp_eq_u32_e32 vcc_lo, 0x40f, v11
	v_cndmask_b32_e32 v6, v12, v6, vcc_lo
	v_cmp_eq_u32_e32 vcc_lo, 0x40f, v13
	v_and_or_b32 v6, 0x8000, v7, v6
	v_cndmask_b32_e32 v8, v10, v8, vcc_lo
	v_add_co_u32 v4, vcc_lo, v4, s6
	v_add_co_ci_u32_e32 v5, vcc_lo, s3, v5, vcc_lo
	v_and_or_b32 v7, 0x8000, v9, v8
	v_and_b32_e32 v6, 0xffff, v6
	v_lshl_or_b32 v6, v7, 16, v6
	global_store_dword v[4:5], v6, off
	global_load_dword v8, v39, s[12:13] offset:1936
	ds_read2_b32 v[6:7], v3 offset0:100 offset1:144
	s_waitcnt lgkmcnt(0)
	v_lshrrev_b32_e32 v3, 16, v6
	s_waitcnt vmcnt(0)
	v_mul_f16_sdwa v9, v3, v8 dst_sel:DWORD dst_unused:UNUSED_PAD src0_sel:DWORD src1_sel:WORD_1
	v_mul_f16_sdwa v10, v6, v8 dst_sel:DWORD dst_unused:UNUSED_PAD src0_sel:DWORD src1_sel:WORD_1
	v_fmac_f16_e32 v9, v6, v8
	v_fma_f16 v3, v8, v3, -v10
	v_cvt_f32_f16_e32 v6, v9
	v_cvt_f32_f16_e32 v3, v3
	v_cvt_f64_f32_e32 v[8:9], v6
	v_cvt_f64_f32_e32 v[10:11], v3
	v_mul_f64 v[8:9], v[8:9], s[8:9]
	v_mul_f64 v[10:11], v[10:11], s[8:9]
	v_and_or_b32 v3, 0x1ff, v9, v8
	v_and_or_b32 v10, 0x1ff, v11, v10
	v_lshrrev_b32_e32 v6, 8, v9
	v_bfe_u32 v8, v9, 20, 11
	v_lshrrev_b32_e32 v12, 8, v11
	v_cmp_ne_u32_e32 vcc_lo, 0, v3
	v_bfe_u32 v13, v11, 20, 11
	v_lshrrev_b32_e32 v9, 16, v9
	v_sub_nc_u32_e32 v14, 0x3f1, v8
	v_add_nc_u32_e32 v8, 0xfffffc10, v8
	v_cndmask_b32_e64 v3, 0, 1, vcc_lo
	v_cmp_ne_u32_e32 vcc_lo, 0, v10
	v_and_or_b32 v3, 0xffe, v6, v3
	v_cndmask_b32_e64 v10, 0, 1, vcc_lo
	v_sub_nc_u32_e32 v6, 0x3f1, v13
	v_add_nc_u32_e32 v13, 0xfffffc10, v13
	v_and_or_b32 v10, 0xffe, v12, v10
	v_med3_i32 v12, v14, 0, 13
	v_or_b32_e32 v14, 0x1000, v3
	v_med3_i32 v6, v6, 0, 13
	v_or_b32_e32 v15, 0x1000, v10
	v_lshrrev_b32_e32 v16, v12, v14
	v_lshrrev_b32_e32 v17, v6, v15
	v_lshlrev_b32_e32 v12, v12, v16
	v_lshlrev_b32_e32 v6, v6, v17
	v_cmp_ne_u32_e32 vcc_lo, v12, v14
	v_lshl_or_b32 v14, v8, 12, v3
	v_cndmask_b32_e64 v12, 0, 1, vcc_lo
	v_cmp_ne_u32_e32 vcc_lo, v6, v15
	v_lshl_or_b32 v15, v13, 12, v10
	v_or_b32_e32 v12, v16, v12
	v_cndmask_b32_e64 v6, 0, 1, vcc_lo
	v_cmp_gt_i32_e32 vcc_lo, 1, v8
	v_or_b32_e32 v6, v17, v6
	v_cndmask_b32_e32 v12, v14, v12, vcc_lo
	v_cmp_gt_i32_e32 vcc_lo, 1, v13
	v_and_b32_e32 v14, 7, v12
	v_cndmask_b32_e32 v6, v15, v6, vcc_lo
	v_cmp_ne_u32_e32 vcc_lo, 0, v3
	v_lshrrev_b32_e32 v12, 2, v12
	v_cmp_eq_u32_e64 s0, 3, v14
	v_and_b32_e32 v15, 7, v6
	v_cndmask_b32_e64 v3, 0, 1, vcc_lo
	v_cmp_ne_u32_e32 vcc_lo, 0, v10
	v_lshrrev_b32_e32 v6, 2, v6
	v_cmp_lt_i32_e64 s1, 5, v15
	v_cmp_eq_u32_e64 s2, 3, v15
	v_cndmask_b32_e64 v10, 0, 1, vcc_lo
	v_cmp_lt_i32_e32 vcc_lo, 5, v14
	v_lshl_or_b32 v3, v3, 9, 0x7c00
	v_lshl_or_b32 v10, v10, 9, 0x7c00
	s_or_b32 vcc_lo, s0, vcc_lo
	v_add_co_ci_u32_e32 v12, vcc_lo, 0, v12, vcc_lo
	s_or_b32 vcc_lo, s2, s1
	v_add_co_ci_u32_e32 v6, vcc_lo, 0, v6, vcc_lo
	v_cmp_gt_i32_e32 vcc_lo, 31, v8
	v_cndmask_b32_e32 v12, 0x7c00, v12, vcc_lo
	v_cmp_gt_i32_e32 vcc_lo, 31, v13
	v_cndmask_b32_e32 v6, 0x7c00, v6, vcc_lo
	v_cmp_eq_u32_e32 vcc_lo, 0x40f, v8
	v_lshrrev_b32_e32 v8, 16, v11
	v_cndmask_b32_e32 v3, v12, v3, vcc_lo
	v_cmp_eq_u32_e32 vcc_lo, 0x40f, v13
	v_and_or_b32 v3, 0x8000, v9, v3
	v_cndmask_b32_e32 v6, v6, v10, vcc_lo
	v_add_co_u32 v9, s0, s12, v39
	v_add_co_ci_u32_e64 v10, null, s13, 0, s0
	v_and_or_b32 v6, 0x8000, v8, v6
	v_and_b32_e32 v8, 0xffff, v3
	v_add_co_u32 v3, vcc_lo, v4, s6
	v_add_co_ci_u32_e32 v4, vcc_lo, s3, v5, vcc_lo
	v_add_co_u32 v5, vcc_lo, 0x800, v9
	v_lshl_or_b32 v8, v6, 16, v8
	v_add_co_ci_u32_e32 v6, vcc_lo, 0, v10, vcc_lo
	v_lshrrev_b32_e32 v9, 16, v7
	global_store_dword v[3:4], v8, off
	global_load_dword v8, v[5:6], off offset:64
	s_waitcnt vmcnt(0)
	v_mul_f16_sdwa v10, v9, v8 dst_sel:DWORD dst_unused:UNUSED_PAD src0_sel:DWORD src1_sel:WORD_1
	v_mul_f16_sdwa v11, v7, v8 dst_sel:DWORD dst_unused:UNUSED_PAD src0_sel:DWORD src1_sel:WORD_1
	v_fmac_f16_e32 v10, v7, v8
	v_fma_f16 v7, v8, v9, -v11
	v_cvt_f32_f16_e32 v8, v10
	v_cvt_f32_f16_e32 v9, v7
	v_cvt_f64_f32_e32 v[7:8], v8
	v_cvt_f64_f32_e32 v[9:10], v9
	v_mul_f64 v[7:8], v[7:8], s[8:9]
	v_mul_f64 v[9:10], v[9:10], s[8:9]
	v_and_or_b32 v7, 0x1ff, v8, v7
	v_and_or_b32 v9, 0x1ff, v10, v9
	v_lshrrev_b32_e32 v11, 8, v8
	v_bfe_u32 v12, v8, 20, 11
	v_lshrrev_b32_e32 v13, 8, v10
	v_cmp_ne_u32_e32 vcc_lo, 0, v7
	v_bfe_u32 v14, v10, 20, 11
	v_lshrrev_b32_e32 v8, 16, v8
	v_sub_nc_u32_e32 v15, 0x3f1, v12
	v_add_nc_u32_e32 v12, 0xfffffc10, v12
	v_cndmask_b32_e64 v7, 0, 1, vcc_lo
	v_cmp_ne_u32_e32 vcc_lo, 0, v9
	v_lshrrev_b32_e32 v10, 16, v10
	v_and_or_b32 v7, 0xffe, v11, v7
	v_cndmask_b32_e64 v9, 0, 1, vcc_lo
	v_sub_nc_u32_e32 v11, 0x3f1, v14
	v_add_nc_u32_e32 v14, 0xfffffc10, v14
	v_and_or_b32 v9, 0xffe, v13, v9
	v_med3_i32 v13, v15, 0, 13
	v_or_b32_e32 v15, 0x1000, v7
	v_med3_i32 v11, v11, 0, 13
	v_or_b32_e32 v16, 0x1000, v9
	v_lshrrev_b32_e32 v17, v13, v15
	v_lshrrev_b32_e32 v18, v11, v16
	v_lshlrev_b32_e32 v13, v13, v17
	v_lshlrev_b32_e32 v11, v11, v18
	v_cmp_ne_u32_e32 vcc_lo, v13, v15
	v_lshl_or_b32 v15, v12, 12, v7
	v_cndmask_b32_e64 v13, 0, 1, vcc_lo
	v_cmp_ne_u32_e32 vcc_lo, v11, v16
	v_lshl_or_b32 v16, v14, 12, v9
	v_or_b32_e32 v13, v17, v13
	v_cndmask_b32_e64 v11, 0, 1, vcc_lo
	v_cmp_gt_i32_e32 vcc_lo, 1, v12
	v_or_b32_e32 v11, v18, v11
	v_cndmask_b32_e32 v13, v15, v13, vcc_lo
	v_cmp_gt_i32_e32 vcc_lo, 1, v14
	v_and_b32_e32 v15, 7, v13
	v_cndmask_b32_e32 v11, v16, v11, vcc_lo
	v_cmp_ne_u32_e32 vcc_lo, 0, v7
	v_lshrrev_b32_e32 v13, 2, v13
	v_cmp_eq_u32_e64 s0, 3, v15
	v_and_b32_e32 v16, 7, v11
	v_cndmask_b32_e64 v7, 0, 1, vcc_lo
	v_cmp_ne_u32_e32 vcc_lo, 0, v9
	v_lshrrev_b32_e32 v11, 2, v11
	v_cmp_lt_i32_e64 s1, 5, v16
	v_cmp_eq_u32_e64 s2, 3, v16
	v_cndmask_b32_e64 v9, 0, 1, vcc_lo
	v_cmp_lt_i32_e32 vcc_lo, 5, v15
	v_lshl_or_b32 v7, v7, 9, 0x7c00
	v_lshl_or_b32 v9, v9, 9, 0x7c00
	s_or_b32 vcc_lo, s0, vcc_lo
	v_add_co_ci_u32_e32 v13, vcc_lo, 0, v13, vcc_lo
	s_or_b32 vcc_lo, s2, s1
	v_add_co_ci_u32_e32 v11, vcc_lo, 0, v11, vcc_lo
	v_cmp_gt_i32_e32 vcc_lo, 31, v12
	v_cndmask_b32_e32 v13, 0x7c00, v13, vcc_lo
	v_cmp_gt_i32_e32 vcc_lo, 31, v14
	v_cndmask_b32_e32 v11, 0x7c00, v11, vcc_lo
	v_cmp_eq_u32_e32 vcc_lo, 0x40f, v12
	v_cndmask_b32_e32 v7, v13, v7, vcc_lo
	v_cmp_eq_u32_e32 vcc_lo, 0x40f, v14
	v_and_or_b32 v7, 0x8000, v8, v7
	v_cndmask_b32_e32 v9, v11, v9, vcc_lo
	v_add_co_u32 v3, vcc_lo, v3, s6
	v_add_co_ci_u32_e32 v4, vcc_lo, s3, v4, vcc_lo
	v_and_or_b32 v8, 0x8000, v10, v9
	v_and_b32_e32 v7, 0xffff, v7
	v_lshl_or_b32 v7, v8, 16, v7
	global_store_dword v[3:4], v7, off
	global_load_dword v9, v[5:6], off offset:240
	ds_read2_b32 v[7:8], v2 offset0:60 offset1:104
	s_waitcnt lgkmcnt(0)
	v_lshrrev_b32_e32 v10, 16, v7
	s_waitcnt vmcnt(0)
	v_mul_f16_sdwa v11, v10, v9 dst_sel:DWORD dst_unused:UNUSED_PAD src0_sel:DWORD src1_sel:WORD_1
	v_mul_f16_sdwa v12, v7, v9 dst_sel:DWORD dst_unused:UNUSED_PAD src0_sel:DWORD src1_sel:WORD_1
	v_fmac_f16_e32 v11, v7, v9
	v_fma_f16 v7, v9, v10, -v12
	v_cvt_f32_f16_e32 v9, v11
	v_cvt_f32_f16_e32 v7, v7
	v_cvt_f64_f32_e32 v[9:10], v9
	v_cvt_f64_f32_e32 v[11:12], v7
	v_mul_f64 v[9:10], v[9:10], s[8:9]
	v_mul_f64 v[11:12], v[11:12], s[8:9]
	v_and_or_b32 v7, 0x1ff, v10, v9
	v_and_or_b32 v11, 0x1ff, v12, v11
	v_lshrrev_b32_e32 v9, 8, v10
	v_bfe_u32 v13, v10, 20, 11
	v_lshrrev_b32_e32 v14, 8, v12
	v_cmp_ne_u32_e32 vcc_lo, 0, v7
	v_bfe_u32 v15, v12, 20, 11
	v_lshrrev_b32_e32 v10, 16, v10
	v_sub_nc_u32_e32 v16, 0x3f1, v13
	v_add_nc_u32_e32 v13, 0xfffffc10, v13
	v_cndmask_b32_e64 v7, 0, 1, vcc_lo
	v_cmp_ne_u32_e32 vcc_lo, 0, v11
	v_lshrrev_b32_e32 v12, 16, v12
	v_and_or_b32 v7, 0xffe, v9, v7
	v_cndmask_b32_e64 v11, 0, 1, vcc_lo
	v_sub_nc_u32_e32 v9, 0x3f1, v15
	v_add_nc_u32_e32 v15, 0xfffffc10, v15
	v_and_or_b32 v11, 0xffe, v14, v11
	v_med3_i32 v14, v16, 0, 13
	v_or_b32_e32 v16, 0x1000, v7
	v_med3_i32 v9, v9, 0, 13
	v_or_b32_e32 v17, 0x1000, v11
	v_lshrrev_b32_e32 v18, v14, v16
	v_lshrrev_b32_e32 v19, v9, v17
	v_lshlrev_b32_e32 v14, v14, v18
	v_lshlrev_b32_e32 v9, v9, v19
	v_cmp_ne_u32_e32 vcc_lo, v14, v16
	v_lshl_or_b32 v16, v13, 12, v7
	v_cndmask_b32_e64 v14, 0, 1, vcc_lo
	v_cmp_ne_u32_e32 vcc_lo, v9, v17
	v_lshl_or_b32 v17, v15, 12, v11
	v_or_b32_e32 v14, v18, v14
	v_cndmask_b32_e64 v9, 0, 1, vcc_lo
	v_cmp_gt_i32_e32 vcc_lo, 1, v13
	v_or_b32_e32 v9, v19, v9
	v_cndmask_b32_e32 v14, v16, v14, vcc_lo
	v_cmp_gt_i32_e32 vcc_lo, 1, v15
	v_and_b32_e32 v16, 7, v14
	v_cndmask_b32_e32 v9, v17, v9, vcc_lo
	v_cmp_ne_u32_e32 vcc_lo, 0, v7
	v_lshrrev_b32_e32 v14, 2, v14
	v_cmp_eq_u32_e64 s0, 3, v16
	v_and_b32_e32 v17, 7, v9
	v_cndmask_b32_e64 v7, 0, 1, vcc_lo
	v_cmp_ne_u32_e32 vcc_lo, 0, v11
	v_lshrrev_b32_e32 v9, 2, v9
	v_cmp_lt_i32_e64 s1, 5, v17
	v_cmp_eq_u32_e64 s2, 3, v17
	v_cndmask_b32_e64 v11, 0, 1, vcc_lo
	v_cmp_lt_i32_e32 vcc_lo, 5, v16
	v_lshl_or_b32 v7, v7, 9, 0x7c00
	v_lshl_or_b32 v11, v11, 9, 0x7c00
	s_or_b32 vcc_lo, s0, vcc_lo
	v_add_co_ci_u32_e32 v14, vcc_lo, 0, v14, vcc_lo
	s_or_b32 vcc_lo, s2, s1
	v_add_co_ci_u32_e32 v9, vcc_lo, 0, v9, vcc_lo
	v_cmp_gt_i32_e32 vcc_lo, 31, v13
	v_cndmask_b32_e32 v14, 0x7c00, v14, vcc_lo
	v_cmp_gt_i32_e32 vcc_lo, 31, v15
	v_cndmask_b32_e32 v9, 0x7c00, v9, vcc_lo
	v_cmp_eq_u32_e32 vcc_lo, 0x40f, v13
	v_cndmask_b32_e32 v7, v14, v7, vcc_lo
	v_cmp_eq_u32_e32 vcc_lo, 0x40f, v15
	v_and_or_b32 v7, 0x8000, v10, v7
	v_cndmask_b32_e32 v9, v9, v11, vcc_lo
	v_add_co_u32 v3, vcc_lo, v3, s6
	v_add_co_ci_u32_e32 v4, vcc_lo, s3, v4, vcc_lo
	v_and_or_b32 v9, 0x8000, v12, v9
	v_and_b32_e32 v7, 0xffff, v7
	v_lshl_or_b32 v7, v9, 16, v7
	v_lshrrev_b32_e32 v9, 16, v8
	global_store_dword v[3:4], v7, off
	global_load_dword v7, v[5:6], off offset:416
	s_waitcnt vmcnt(0)
	v_mul_f16_sdwa v10, v9, v7 dst_sel:DWORD dst_unused:UNUSED_PAD src0_sel:DWORD src1_sel:WORD_1
	v_mul_f16_sdwa v11, v8, v7 dst_sel:DWORD dst_unused:UNUSED_PAD src0_sel:DWORD src1_sel:WORD_1
	v_fmac_f16_e32 v10, v8, v7
	v_fma_f16 v7, v7, v9, -v11
	v_cvt_f32_f16_e32 v8, v10
	v_cvt_f32_f16_e32 v9, v7
	v_cvt_f64_f32_e32 v[7:8], v8
	v_cvt_f64_f32_e32 v[9:10], v9
	v_mul_f64 v[7:8], v[7:8], s[8:9]
	v_mul_f64 v[9:10], v[9:10], s[8:9]
	v_and_or_b32 v7, 0x1ff, v8, v7
	v_and_or_b32 v9, 0x1ff, v10, v9
	v_lshrrev_b32_e32 v11, 8, v8
	v_bfe_u32 v12, v8, 20, 11
	v_lshrrev_b32_e32 v13, 8, v10
	v_cmp_ne_u32_e32 vcc_lo, 0, v7
	v_bfe_u32 v14, v10, 20, 11
	v_lshrrev_b32_e32 v8, 16, v8
	v_sub_nc_u32_e32 v15, 0x3f1, v12
	v_add_nc_u32_e32 v12, 0xfffffc10, v12
	v_cndmask_b32_e64 v7, 0, 1, vcc_lo
	v_cmp_ne_u32_e32 vcc_lo, 0, v9
	v_lshrrev_b32_e32 v10, 16, v10
	v_and_or_b32 v7, 0xffe, v11, v7
	v_cndmask_b32_e64 v9, 0, 1, vcc_lo
	v_sub_nc_u32_e32 v11, 0x3f1, v14
	v_add_nc_u32_e32 v14, 0xfffffc10, v14
	v_and_or_b32 v9, 0xffe, v13, v9
	v_med3_i32 v13, v15, 0, 13
	v_or_b32_e32 v15, 0x1000, v7
	v_med3_i32 v11, v11, 0, 13
	v_or_b32_e32 v16, 0x1000, v9
	v_lshrrev_b32_e32 v17, v13, v15
	v_lshrrev_b32_e32 v18, v11, v16
	v_lshlrev_b32_e32 v13, v13, v17
	v_lshlrev_b32_e32 v11, v11, v18
	v_cmp_ne_u32_e32 vcc_lo, v13, v15
	v_lshl_or_b32 v15, v12, 12, v7
	v_cndmask_b32_e64 v13, 0, 1, vcc_lo
	v_cmp_ne_u32_e32 vcc_lo, v11, v16
	v_lshl_or_b32 v16, v14, 12, v9
	v_or_b32_e32 v13, v17, v13
	v_cndmask_b32_e64 v11, 0, 1, vcc_lo
	v_cmp_gt_i32_e32 vcc_lo, 1, v12
	v_or_b32_e32 v11, v18, v11
	v_cndmask_b32_e32 v13, v15, v13, vcc_lo
	v_cmp_gt_i32_e32 vcc_lo, 1, v14
	v_and_b32_e32 v15, 7, v13
	v_cndmask_b32_e32 v11, v16, v11, vcc_lo
	v_cmp_ne_u32_e32 vcc_lo, 0, v7
	v_lshrrev_b32_e32 v13, 2, v13
	v_cmp_eq_u32_e64 s0, 3, v15
	v_and_b32_e32 v16, 7, v11
	v_cndmask_b32_e64 v7, 0, 1, vcc_lo
	v_cmp_ne_u32_e32 vcc_lo, 0, v9
	v_lshrrev_b32_e32 v11, 2, v11
	v_cmp_lt_i32_e64 s1, 5, v16
	v_cmp_eq_u32_e64 s2, 3, v16
	v_cndmask_b32_e64 v9, 0, 1, vcc_lo
	v_cmp_lt_i32_e32 vcc_lo, 5, v15
	v_lshl_or_b32 v7, v7, 9, 0x7c00
	v_lshl_or_b32 v9, v9, 9, 0x7c00
	s_or_b32 vcc_lo, s0, vcc_lo
	v_add_co_ci_u32_e32 v13, vcc_lo, 0, v13, vcc_lo
	s_or_b32 vcc_lo, s2, s1
	v_add_co_ci_u32_e32 v11, vcc_lo, 0, v11, vcc_lo
	v_cmp_gt_i32_e32 vcc_lo, 31, v12
	v_cndmask_b32_e32 v13, 0x7c00, v13, vcc_lo
	v_cmp_gt_i32_e32 vcc_lo, 31, v14
	v_cndmask_b32_e32 v11, 0x7c00, v11, vcc_lo
	v_cmp_eq_u32_e32 vcc_lo, 0x40f, v12
	v_cndmask_b32_e32 v7, v13, v7, vcc_lo
	v_cmp_eq_u32_e32 vcc_lo, 0x40f, v14
	v_and_or_b32 v7, 0x8000, v8, v7
	v_cndmask_b32_e32 v9, v11, v9, vcc_lo
	v_add_co_u32 v3, vcc_lo, v3, s6
	v_add_co_ci_u32_e32 v4, vcc_lo, s3, v4, vcc_lo
	v_and_or_b32 v8, 0x8000, v10, v9
	v_and_b32_e32 v7, 0xffff, v7
	v_lshl_or_b32 v7, v8, 16, v7
	global_store_dword v[3:4], v7, off
	global_load_dword v7, v[5:6], off offset:592
	ds_read2_b32 v[5:6], v2 offset0:148 offset1:192
	s_waitcnt lgkmcnt(0)
	v_lshrrev_b32_e32 v2, 16, v5
	s_waitcnt vmcnt(0)
	v_mul_f16_sdwa v8, v2, v7 dst_sel:DWORD dst_unused:UNUSED_PAD src0_sel:DWORD src1_sel:WORD_1
	v_mul_f16_sdwa v9, v5, v7 dst_sel:DWORD dst_unused:UNUSED_PAD src0_sel:DWORD src1_sel:WORD_1
	v_fmac_f16_e32 v8, v5, v7
	v_fma_f16 v2, v7, v2, -v9
	v_cvt_f32_f16_e32 v5, v8
	v_cvt_f32_f16_e32 v2, v2
	v_cvt_f64_f32_e32 v[7:8], v5
	v_cvt_f64_f32_e32 v[9:10], v2
	v_mul_f64 v[7:8], v[7:8], s[8:9]
	v_mul_f64 v[9:10], v[9:10], s[8:9]
	v_and_or_b32 v2, 0x1ff, v8, v7
	v_and_or_b32 v9, 0x1ff, v10, v9
	v_lshrrev_b32_e32 v5, 8, v8
	v_bfe_u32 v7, v8, 20, 11
	v_lshrrev_b32_e32 v11, 8, v10
	v_cmp_ne_u32_e32 vcc_lo, 0, v2
	v_bfe_u32 v12, v10, 20, 11
	v_lshrrev_b32_e32 v8, 16, v8
	v_sub_nc_u32_e32 v13, 0x3f1, v7
	v_add_nc_u32_e32 v7, 0xfffffc10, v7
	v_cndmask_b32_e64 v2, 0, 1, vcc_lo
	v_cmp_ne_u32_e32 vcc_lo, 0, v9
	v_and_or_b32 v2, 0xffe, v5, v2
	v_cndmask_b32_e64 v9, 0, 1, vcc_lo
	v_sub_nc_u32_e32 v5, 0x3f1, v12
	v_add_nc_u32_e32 v12, 0xfffffc10, v12
	v_and_or_b32 v9, 0xffe, v11, v9
	v_med3_i32 v11, v13, 0, 13
	v_or_b32_e32 v13, 0x1000, v2
	v_med3_i32 v5, v5, 0, 13
	v_or_b32_e32 v14, 0x1000, v9
	v_lshrrev_b32_e32 v15, v11, v13
	v_lshrrev_b32_e32 v16, v5, v14
	v_lshlrev_b32_e32 v11, v11, v15
	v_lshlrev_b32_e32 v5, v5, v16
	v_cmp_ne_u32_e32 vcc_lo, v11, v13
	v_lshl_or_b32 v13, v7, 12, v2
	v_cndmask_b32_e64 v11, 0, 1, vcc_lo
	v_cmp_ne_u32_e32 vcc_lo, v5, v14
	v_lshl_or_b32 v14, v12, 12, v9
	v_or_b32_e32 v11, v15, v11
	v_cndmask_b32_e64 v5, 0, 1, vcc_lo
	v_cmp_gt_i32_e32 vcc_lo, 1, v7
	v_or_b32_e32 v5, v16, v5
	v_cndmask_b32_e32 v11, v13, v11, vcc_lo
	v_cmp_gt_i32_e32 vcc_lo, 1, v12
	v_and_b32_e32 v13, 7, v11
	v_cndmask_b32_e32 v5, v14, v5, vcc_lo
	v_cmp_ne_u32_e32 vcc_lo, 0, v2
	v_lshrrev_b32_e32 v11, 2, v11
	v_cmp_eq_u32_e64 s0, 3, v13
	v_and_b32_e32 v14, 7, v5
	v_cndmask_b32_e64 v2, 0, 1, vcc_lo
	v_cmp_ne_u32_e32 vcc_lo, 0, v9
	v_lshrrev_b32_e32 v5, 2, v5
	v_cmp_lt_i32_e64 s1, 5, v14
	v_cmp_eq_u32_e64 s2, 3, v14
	v_cndmask_b32_e64 v9, 0, 1, vcc_lo
	v_cmp_lt_i32_e32 vcc_lo, 5, v13
	v_lshl_or_b32 v2, v2, 9, 0x7c00
	v_lshl_or_b32 v9, v9, 9, 0x7c00
	s_or_b32 vcc_lo, s0, vcc_lo
	v_add_co_ci_u32_e32 v11, vcc_lo, 0, v11, vcc_lo
	s_or_b32 vcc_lo, s2, s1
	v_add_co_ci_u32_e32 v5, vcc_lo, 0, v5, vcc_lo
	v_cmp_gt_i32_e32 vcc_lo, 31, v7
	v_cndmask_b32_e32 v11, 0x7c00, v11, vcc_lo
	v_cmp_gt_i32_e32 vcc_lo, 31, v12
	v_cndmask_b32_e32 v5, 0x7c00, v5, vcc_lo
	v_cmp_eq_u32_e32 vcc_lo, 0x40f, v7
	v_lshrrev_b32_e32 v7, 16, v10
	v_cndmask_b32_e32 v2, v11, v2, vcc_lo
	v_cmp_eq_u32_e32 vcc_lo, 0x40f, v12
	v_and_or_b32 v2, 0x8000, v8, v2
	v_cndmask_b32_e32 v5, v5, v9, vcc_lo
	v_and_or_b32 v5, 0x8000, v7, v5
	v_and_b32_e32 v7, 0xffff, v2
	v_add_co_u32 v2, vcc_lo, v3, s6
	v_add_co_ci_u32_e32 v3, vcc_lo, s3, v4, vcc_lo
	v_lshl_or_b32 v4, v5, 16, v7
	v_lshlrev_b32_e32 v5, 2, v38
	global_store_dword v[2:3], v4, off
	global_load_dword v2, v5, s[12:13]
	v_lshrrev_b32_e32 v3, 16, v6
	s_waitcnt vmcnt(0)
	v_mul_f16_sdwa v4, v3, v2 dst_sel:DWORD dst_unused:UNUSED_PAD src0_sel:DWORD src1_sel:WORD_1
	v_mul_f16_sdwa v5, v6, v2 dst_sel:DWORD dst_unused:UNUSED_PAD src0_sel:DWORD src1_sel:WORD_1
	v_fmac_f16_e32 v4, v6, v2
	v_fma_f16 v2, v2, v3, -v5
	v_cvt_f32_f16_e32 v3, v4
	v_cvt_f32_f16_e32 v4, v2
	v_cvt_f64_f32_e32 v[2:3], v3
	v_cvt_f64_f32_e32 v[4:5], v4
	v_mul_f64 v[2:3], v[2:3], s[8:9]
	v_mul_f64 v[4:5], v[4:5], s[8:9]
	v_and_or_b32 v2, 0x1ff, v3, v2
	v_and_or_b32 v4, 0x1ff, v5, v4
	v_lshrrev_b32_e32 v6, 8, v3
	v_bfe_u32 v8, v3, 20, 11
	v_bfe_u32 v9, v5, 20, 11
	v_cmp_ne_u32_e32 vcc_lo, 0, v2
	v_lshrrev_b32_e32 v7, 8, v5
	v_lshrrev_b32_e32 v5, 16, v5
	v_sub_nc_u32_e32 v10, 0x3f1, v8
	v_sub_nc_u32_e32 v11, 0x3f1, v9
	v_cndmask_b32_e64 v2, 0, 1, vcc_lo
	v_cmp_ne_u32_e32 vcc_lo, 0, v4
	v_add_nc_u32_e32 v9, 0xfffffc10, v9
	v_and_or_b32 v12, 0xffe, v6, v2
	v_cndmask_b32_e64 v4, 0, 1, vcc_lo
	v_med3_i32 v2, v10, 0, 13
	v_med3_i32 v10, v11, 0, 13
	v_or_b32_e32 v11, 0x1000, v12
	v_and_or_b32 v4, 0xffe, v7, v4
	v_mad_u64_u32 v[6:7], null, s4, v38, 0
	v_lshrrev_b32_e32 v14, v2, v11
	v_or_b32_e32 v13, 0x1000, v4
	v_lshlrev_b32_e32 v16, v2, v14
	v_lshrrev_b32_e32 v15, v10, v13
	v_mov_b32_e32 v2, v7
	v_cmp_ne_u32_e32 vcc_lo, v16, v11
	v_lshlrev_b32_e32 v7, v10, v15
	v_add_nc_u32_e32 v10, 0xfffffc10, v8
	v_cndmask_b32_e64 v11, 0, 1, vcc_lo
	v_cmp_ne_u32_e32 vcc_lo, v7, v13
	v_mad_u64_u32 v[7:8], null, s5, v38, v[2:3]
	v_lshl_or_b32 v2, v10, 12, v12
	v_or_b32_e32 v8, v14, v11
	v_cndmask_b32_e64 v13, 0, 1, vcc_lo
	v_cmp_gt_i32_e32 vcc_lo, 1, v10
	v_lshl_or_b32 v11, v9, 12, v4
	v_lshrrev_b32_e32 v3, 16, v3
	v_or_b32_e32 v13, v15, v13
	v_cndmask_b32_e32 v2, v2, v8, vcc_lo
	v_cmp_gt_i32_e32 vcc_lo, 1, v9
	v_cndmask_b32_e32 v8, v11, v13, vcc_lo
	v_cmp_ne_u32_e32 vcc_lo, 0, v12
	v_and_b32_e32 v12, 7, v2
	v_lshrrev_b32_e32 v2, 2, v2
	v_and_b32_e32 v13, 7, v8
	v_cndmask_b32_e64 v11, 0, 1, vcc_lo
	v_cmp_ne_u32_e32 vcc_lo, 0, v4
	v_cmp_eq_u32_e64 s0, 3, v12
	v_lshrrev_b32_e32 v8, 2, v8
	v_cmp_lt_i32_e64 s1, 5, v13
	v_cmp_eq_u32_e64 s2, 3, v13
	v_cndmask_b32_e64 v4, 0, 1, vcc_lo
	v_cmp_lt_i32_e32 vcc_lo, 5, v12
	v_lshl_or_b32 v11, v11, 9, 0x7c00
	v_lshl_or_b32 v4, v4, 9, 0x7c00
	s_or_b32 vcc_lo, s0, vcc_lo
	v_add_co_ci_u32_e32 v2, vcc_lo, 0, v2, vcc_lo
	s_or_b32 vcc_lo, s2, s1
	v_add_co_ci_u32_e32 v8, vcc_lo, 0, v8, vcc_lo
	v_cmp_gt_i32_e32 vcc_lo, 31, v10
	v_cndmask_b32_e32 v2, 0x7c00, v2, vcc_lo
	v_cmp_gt_i32_e32 vcc_lo, 31, v9
	v_cndmask_b32_e32 v8, 0x7c00, v8, vcc_lo
	v_cmp_eq_u32_e32 vcc_lo, 0x40f, v10
	v_cndmask_b32_e32 v2, v2, v11, vcc_lo
	v_cmp_eq_u32_e32 vcc_lo, 0x40f, v9
	v_and_or_b32 v2, 0x8000, v3, v2
	v_cndmask_b32_e32 v4, v8, v4, vcc_lo
	v_and_or_b32 v4, 0x8000, v5, v4
	v_and_b32_e32 v5, 0xffff, v2
	v_lshlrev_b64 v[2:3], 2, v[6:7]
	v_lshl_or_b32 v4, v4, 16, v5
	v_add_co_u32 v0, vcc_lo, v0, v2
	v_add_co_ci_u32_e32 v1, vcc_lo, v1, v3, vcc_lo
	global_store_dword v[0:1], v4, off
.LBB0_23:
	s_endpgm
	.section	.rodata,"a",@progbits
	.p2align	6, 0x0
	.amdhsa_kernel bluestein_single_back_len748_dim1_half_op_CI_CI
		.amdhsa_group_segment_fixed_size 8976
		.amdhsa_private_segment_fixed_size 0
		.amdhsa_kernarg_size 104
		.amdhsa_user_sgpr_count 6
		.amdhsa_user_sgpr_private_segment_buffer 1
		.amdhsa_user_sgpr_dispatch_ptr 0
		.amdhsa_user_sgpr_queue_ptr 0
		.amdhsa_user_sgpr_kernarg_segment_ptr 1
		.amdhsa_user_sgpr_dispatch_id 0
		.amdhsa_user_sgpr_flat_scratch_init 0
		.amdhsa_user_sgpr_private_segment_size 0
		.amdhsa_wavefront_size32 1
		.amdhsa_uses_dynamic_stack 0
		.amdhsa_system_sgpr_private_segment_wavefront_offset 0
		.amdhsa_system_sgpr_workgroup_id_x 1
		.amdhsa_system_sgpr_workgroup_id_y 0
		.amdhsa_system_sgpr_workgroup_id_z 0
		.amdhsa_system_sgpr_workgroup_info 0
		.amdhsa_system_vgpr_workitem_id 0
		.amdhsa_next_free_vgpr 191
		.amdhsa_next_free_sgpr 16
		.amdhsa_reserve_vcc 1
		.amdhsa_reserve_flat_scratch 0
		.amdhsa_float_round_mode_32 0
		.amdhsa_float_round_mode_16_64 0
		.amdhsa_float_denorm_mode_32 3
		.amdhsa_float_denorm_mode_16_64 3
		.amdhsa_dx10_clamp 1
		.amdhsa_ieee_mode 1
		.amdhsa_fp16_overflow 0
		.amdhsa_workgroup_processor_mode 1
		.amdhsa_memory_ordered 1
		.amdhsa_forward_progress 0
		.amdhsa_shared_vgpr_count 0
		.amdhsa_exception_fp_ieee_invalid_op 0
		.amdhsa_exception_fp_denorm_src 0
		.amdhsa_exception_fp_ieee_div_zero 0
		.amdhsa_exception_fp_ieee_overflow 0
		.amdhsa_exception_fp_ieee_underflow 0
		.amdhsa_exception_fp_ieee_inexact 0
		.amdhsa_exception_int_div_zero 0
	.end_amdhsa_kernel
	.text
.Lfunc_end0:
	.size	bluestein_single_back_len748_dim1_half_op_CI_CI, .Lfunc_end0-bluestein_single_back_len748_dim1_half_op_CI_CI
                                        ; -- End function
	.section	.AMDGPU.csdata,"",@progbits
; Kernel info:
; codeLenInByte = 30520
; NumSgprs: 18
; NumVgprs: 191
; ScratchSize: 0
; MemoryBound: 0
; FloatMode: 240
; IeeeMode: 1
; LDSByteSize: 8976 bytes/workgroup (compile time only)
; SGPRBlocks: 2
; VGPRBlocks: 23
; NumSGPRsForWavesPerEU: 18
; NumVGPRsForWavesPerEU: 191
; Occupancy: 5
; WaveLimiterHint : 1
; COMPUTE_PGM_RSRC2:SCRATCH_EN: 0
; COMPUTE_PGM_RSRC2:USER_SGPR: 6
; COMPUTE_PGM_RSRC2:TRAP_HANDLER: 0
; COMPUTE_PGM_RSRC2:TGID_X_EN: 1
; COMPUTE_PGM_RSRC2:TGID_Y_EN: 0
; COMPUTE_PGM_RSRC2:TGID_Z_EN: 0
; COMPUTE_PGM_RSRC2:TIDIG_COMP_CNT: 0
	.text
	.p2alignl 6, 3214868480
	.fill 48, 4, 3214868480
	.type	__hip_cuid_995920561927e211,@object ; @__hip_cuid_995920561927e211
	.section	.bss,"aw",@nobits
	.globl	__hip_cuid_995920561927e211
__hip_cuid_995920561927e211:
	.byte	0                               ; 0x0
	.size	__hip_cuid_995920561927e211, 1

	.ident	"AMD clang version 19.0.0git (https://github.com/RadeonOpenCompute/llvm-project roc-6.4.0 25133 c7fe45cf4b819c5991fe208aaa96edf142730f1d)"
	.section	".note.GNU-stack","",@progbits
	.addrsig
	.addrsig_sym __hip_cuid_995920561927e211
	.amdgpu_metadata
---
amdhsa.kernels:
  - .args:
      - .actual_access:  read_only
        .address_space:  global
        .offset:         0
        .size:           8
        .value_kind:     global_buffer
      - .actual_access:  read_only
        .address_space:  global
        .offset:         8
        .size:           8
        .value_kind:     global_buffer
      - .actual_access:  read_only
        .address_space:  global
        .offset:         16
        .size:           8
        .value_kind:     global_buffer
      - .actual_access:  read_only
        .address_space:  global
        .offset:         24
        .size:           8
        .value_kind:     global_buffer
      - .actual_access:  read_only
        .address_space:  global
        .offset:         32
        .size:           8
        .value_kind:     global_buffer
      - .offset:         40
        .size:           8
        .value_kind:     by_value
      - .address_space:  global
        .offset:         48
        .size:           8
        .value_kind:     global_buffer
      - .address_space:  global
        .offset:         56
        .size:           8
        .value_kind:     global_buffer
      - .address_space:  global
        .offset:         64
        .size:           8
        .value_kind:     global_buffer
      - .address_space:  global
        .offset:         72
        .size:           8
        .value_kind:     global_buffer
      - .offset:         80
        .size:           4
        .value_kind:     by_value
      - .address_space:  global
        .offset:         88
        .size:           8
        .value_kind:     global_buffer
      - .address_space:  global
        .offset:         96
        .size:           8
        .value_kind:     global_buffer
    .group_segment_fixed_size: 8976
    .kernarg_segment_align: 8
    .kernarg_segment_size: 104
    .language:       OpenCL C
    .language_version:
      - 2
      - 0
    .max_flat_workgroup_size: 204
    .name:           bluestein_single_back_len748_dim1_half_op_CI_CI
    .private_segment_fixed_size: 0
    .sgpr_count:     18
    .sgpr_spill_count: 0
    .symbol:         bluestein_single_back_len748_dim1_half_op_CI_CI.kd
    .uniform_work_group_size: 1
    .uses_dynamic_stack: false
    .vgpr_count:     191
    .vgpr_spill_count: 0
    .wavefront_size: 32
    .workgroup_processor_mode: 1
amdhsa.target:   amdgcn-amd-amdhsa--gfx1030
amdhsa.version:
  - 1
  - 2
...

	.end_amdgpu_metadata
